;; amdgpu-corpus repo=ROCm/rocFFT kind=compiled arch=gfx950 opt=O3
	.text
	.amdgcn_target "amdgcn-amd-amdhsa--gfx950"
	.amdhsa_code_object_version 6
	.protected	bluestein_single_fwd_len726_dim1_sp_op_CI_CI ; -- Begin function bluestein_single_fwd_len726_dim1_sp_op_CI_CI
	.globl	bluestein_single_fwd_len726_dim1_sp_op_CI_CI
	.p2align	8
	.type	bluestein_single_fwd_len726_dim1_sp_op_CI_CI,@function
bluestein_single_fwd_len726_dim1_sp_op_CI_CI: ; @bluestein_single_fwd_len726_dim1_sp_op_CI_CI
; %bb.0:
	s_load_dwordx4 s[16:19], s[0:1], 0x28
	v_mul_u32_u24_e32 v1, 0x3e1, v0
	v_lshrrev_b32_e32 v1, 16, v1
	v_lshl_add_u32 v68, s2, 1, v1
	v_mov_b32_e32 v69, 0
	s_waitcnt lgkmcnt(0)
	v_cmp_gt_u64_e32 vcc, s[16:17], v[68:69]
	s_and_saveexec_b64 s[2:3], vcc
	s_cbranch_execz .LBB0_10
; %bb.1:
	s_load_dwordx4 s[4:7], s[0:1], 0x18
	s_load_dwordx4 s[8:11], s[0:1], 0x0
	v_mul_lo_u16_e32 v4, 0x42, v1
	v_sub_u16_e32 v116, v0, v4
	v_mov_b32_e32 v2, s18
	s_waitcnt lgkmcnt(0)
	s_load_dwordx4 s[12:15], s[4:5], 0x0
	v_mov_b32_e32 v3, s19
	v_lshlrev_b32_e32 v44, 3, v116
	v_mov_b32_e32 v45, v69
	s_mov_b32 s16, 0xbf4178ce
	s_waitcnt lgkmcnt(0)
	v_mad_u64_u32 v[4:5], s[2:3], s14, v68, 0
	v_mov_b32_e32 v0, v5
	v_mad_u64_u32 v[6:7], s[2:3], s15, v68, v[0:1]
	v_mov_b32_e32 v5, v6
	v_mad_u64_u32 v[6:7], s[2:3], s12, v116, 0
	v_mov_b32_e32 v0, v7
	v_mad_u64_u32 v[8:9], s[2:3], s13, v116, v[0:1]
	v_mov_b32_e32 v7, v8
	v_lshl_add_u64 v[2:3], v[4:5], 3, v[2:3]
	v_lshl_add_u64 v[2:3], v[6:7], 3, v[2:3]
	v_mov_b32_e32 v0, 0x210
	global_load_dwordx2 v[4:5], v[2:3], off
	v_mad_u64_u32 v[2:3], s[2:3], s12, v0, v[2:3]
	s_mul_i32 s4, s13, 0x210
	v_add_u32_e32 v3, s4, v3
	v_mad_u64_u32 v[8:9], s[2:3], s12, v0, v[2:3]
	v_add_u32_e32 v9, s4, v9
	v_mad_u64_u32 v[10:11], s[2:3], s12, v0, v[8:9]
	v_add_u32_e32 v11, s4, v11
	global_load_dwordx2 v[82:83], v44, s[8:9]
	global_load_dwordx2 v[80:81], v44, s[8:9] offset:528
	global_load_dwordx2 v[74:75], v44, s[8:9] offset:1056
	;; [unrolled: 1-line block ×3, first 2 shown]
	global_load_dwordx2 v[12:13], v[2:3], off
	v_mad_u64_u32 v[2:3], s[2:3], s12, v0, v[10:11]
	v_add_u32_e32 v3, s4, v3
	global_load_dwordx2 v[14:15], v[8:9], off
	global_load_dwordx2 v[16:17], v[10:11], off
	;; [unrolled: 1-line block ×3, first 2 shown]
	v_mad_u64_u32 v[2:3], s[2:3], s12, v0, v[2:3]
	v_add_u32_e32 v3, s4, v3
	global_load_dwordx2 v[8:9], v[2:3], off
	v_mad_u64_u32 v[2:3], s[2:3], s12, v0, v[2:3]
	v_add_u32_e32 v3, s4, v3
	global_load_dwordx2 v[78:79], v44, s[8:9] offset:2112
	global_load_dwordx2 v[20:21], v[2:3], off
	v_mad_u64_u32 v[2:3], s[2:3], s12, v0, v[2:3]
	v_add_u32_e32 v3, s4, v3
	global_load_dwordx2 v[76:77], v44, s[8:9] offset:2640
	global_load_dwordx2 v[22:23], v[2:3], off
	global_load_dwordx2 v[70:71], v44, s[8:9] offset:3168
	global_load_dwordx2 v[66:67], v44, s[8:9] offset:3696
	v_mad_u64_u32 v[2:3], s[2:3], s12, v0, v[2:3]
	v_lshl_add_u64 v[6:7], s[8:9], 0, v[44:45]
	v_add_u32_e32 v3, s4, v3
	s_movk_i32 s2, 0x1000
	global_load_dwordx2 v[24:25], v[2:3], off
	v_add_co_u32_e32 v6, vcc, s2, v6
	v_mad_u64_u32 v[2:3], s[2:3], s12, v0, v[2:3]
	s_nop 0
	v_addc_co_u32_e32 v7, vcc, 0, v7, vcc
	v_add_u32_e32 v3, s4, v3
	global_load_dwordx2 v[64:65], v[6:7], off offset:128
	global_load_dwordx2 v[26:27], v[2:3], off
	global_load_dwordx2 v[62:63], v[6:7], off offset:656
	v_mad_u64_u32 v[2:3], s[2:3], s12, v0, v[2:3]
	v_add_u32_e32 v3, s4, v3
	global_load_dwordx2 v[60:61], v[6:7], off offset:1184
	global_load_dwordx2 v[28:29], v[2:3], off
	v_and_b32_e32 v0, 1, v1
	v_mov_b32_e32 v1, 0x16b0
	v_cmp_eq_u32_e32 vcc, 1, v0
	s_load_dwordx4 s[4:7], s[6:7], 0x0
	s_mov_b32 s14, 0xbf68dda4
	v_cndmask_b32_e32 v117, 0, v1, vcc
	v_add_u32_e32 v69, v117, v44
	v_add_u32_e32 v10, 0x800, v69
	;; [unrolled: 1-line block ×3, first 2 shown]
	s_mov_b32 s2, 0x3ed4b147
	s_mov_b32 s12, 0xbf27a4f4
	;; [unrolled: 1-line block ×10, first 2 shown]
	v_cmp_gt_u16_e32 vcc, 55, v116
	s_waitcnt vmcnt(20)
	v_mul_f32_e32 v0, v5, v83
	v_mul_f32_e32 v1, v4, v83
	v_fmac_f32_e32 v0, v4, v82
	v_fma_f32 v1, v5, v82, -v1
	s_waitcnt vmcnt(16)
	v_mul_f32_e32 v2, v13, v81
	v_mul_f32_e32 v3, v12, v81
	v_fmac_f32_e32 v2, v12, v80
	v_fma_f32 v3, v13, v80, -v3
	ds_write2_b64 v69, v[0:1], v[2:3] offset1:66
	s_waitcnt vmcnt(15)
	v_mul_f32_e32 v0, v15, v75
	v_mul_f32_e32 v1, v14, v75
	s_waitcnt vmcnt(14)
	v_mul_f32_e32 v2, v17, v73
	v_mul_f32_e32 v3, v16, v73
	v_fmac_f32_e32 v0, v14, v74
	v_fma_f32 v1, v15, v74, -v1
	v_fmac_f32_e32 v2, v16, v72
	v_fma_f32 v3, v17, v72, -v3
	ds_write2_b64 v69, v[0:1], v[2:3] offset0:132 offset1:198
	s_waitcnt vmcnt(11)
	v_mul_f32_e32 v0, v19, v79
	v_mul_f32_e32 v1, v18, v79
	s_waitcnt vmcnt(9)
	v_mul_f32_e32 v2, v9, v77
	v_mul_f32_e32 v3, v8, v77
	v_fmac_f32_e32 v0, v18, v78
	v_fma_f32 v1, v19, v78, -v1
	v_fmac_f32_e32 v2, v8, v76
	v_fma_f32 v3, v9, v76, -v3
	ds_write2_b64 v10, v[0:1], v[2:3] offset0:8 offset1:74
	;; [unrolled: 11-line block ×4, first 2 shown]
	s_waitcnt vmcnt(0)
	v_mul_f32_e32 v0, v29, v61
	v_mul_f32_e32 v1, v28, v61
	v_fmac_f32_e32 v0, v28, v60
	v_fma_f32 v1, v29, v60, -v1
	ds_write_b64 v69, v[0:1] offset:5280
	s_waitcnt lgkmcnt(0)
	s_barrier
	ds_read2_b64 v[12:15], v10 offset0:8 offset1:74
	ds_read2_b64 v[16:19], v10 offset0:140 offset1:206
	ds_read2_b64 v[0:3], v69 offset1:66
	ds_read2_b64 v[20:23], v69 offset0:132 offset1:198
	ds_read2_b64 v[24:27], v11 offset0:16 offset1:82
	ds_read_b64 v[36:37], v69 offset:5280
	s_waitcnt lgkmcnt(4)
	v_pk_add_f32 v[4:5], v[18:19], v[12:13]
	s_waitcnt lgkmcnt(3)
	v_pk_add_f32 v[28:29], v[0:1], v[2:3]
	v_pk_add_f32 v[6:7], v[12:13], v[18:19] neg_lo:[0,1] neg_hi:[0,1]
	s_waitcnt lgkmcnt(2)
	v_pk_add_f32 v[28:29], v[28:29], v[20:21]
	s_waitcnt lgkmcnt(1)
	v_pk_add_f32 v[30:31], v[22:23], v[24:25] neg_lo:[0,1] neg_hi:[0,1]
	v_pk_add_f32 v[28:29], v[28:29], v[22:23]
	v_pk_add_f32 v[8:9], v[16:17], v[14:15]
	;; [unrolled: 1-line block ×5, first 2 shown]
	v_pk_add_f32 v[14:15], v[14:15], v[16:17] neg_lo:[0,1] neg_hi:[0,1]
	v_pk_add_f32 v[12:13], v[12:13], v[16:17]
	v_pk_add_f32 v[34:35], v[20:21], v[26:27] neg_lo:[0,1] neg_hi:[0,1]
	v_pk_add_f32 v[12:13], v[12:13], v[18:19]
	v_pk_add_f32 v[32:33], v[26:27], v[20:21]
	;; [unrolled: 1-line block ×3, first 2 shown]
	s_waitcnt lgkmcnt(0)
	v_pk_add_f32 v[24:25], v[36:37], v[2:3]
	v_pk_add_f32 v[2:3], v[2:3], v[36:37] neg_lo:[0,1] neg_hi:[0,1]
	v_pk_add_f32 v[12:13], v[12:13], v[26:27]
	v_pk_mul_f32 v[16:17], v[2:3], s[14:15] op_sel_hi:[1,0]
	v_pk_mul_f32 v[18:19], v[34:35], s[16:17] op_sel_hi:[1,0]
	v_pk_fma_f32 v[26:27], v[24:25], s[2:3], v[16:17] op_sel:[0,0,1] op_sel_hi:[1,0,0]
	v_pk_fma_f32 v[38:39], v[24:25], s[2:3], v[16:17] op_sel:[0,0,1] op_sel_hi:[1,0,0] neg_lo:[0,0,1] neg_hi:[0,0,1]
	v_mov_b32_e32 v16, v26
	v_mov_b32_e32 v17, v39
	v_pk_fma_f32 v[40:41], v[32:33], s[12:13], v[18:19] op_sel:[0,0,1] op_sel_hi:[1,0,0]
	v_pk_fma_f32 v[42:43], v[32:33], s[12:13], v[18:19] op_sel:[0,0,1] op_sel_hi:[1,0,0] neg_lo:[0,0,1] neg_hi:[0,0,1]
	v_pk_add_f32 v[16:17], v[0:1], v[16:17]
	v_mov_b32_e32 v18, v40
	v_mov_b32_e32 v19, v43
	v_pk_add_f32 v[16:17], v[18:19], v[16:17]
	v_pk_mul_f32 v[18:19], v[30:31], s[24:25] op_sel_hi:[1,0]
	v_pk_mul_f32 v[20:21], v[34:35], s[24:25] op_sel_hi:[1,0]
	v_pk_fma_f32 v[46:47], v[28:29], s[18:19], v[18:19] op_sel:[0,0,1] op_sel_hi:[1,0,0]
	v_pk_fma_f32 v[48:49], v[28:29], s[18:19], v[18:19] op_sel:[0,0,1] op_sel_hi:[1,0,0] neg_lo:[0,0,1] neg_hi:[0,0,1]
	v_mov_b32_e32 v18, v46
	v_mov_b32_e32 v19, v49
	v_pk_add_f32 v[16:17], v[18:19], v[16:17]
	v_pk_mul_f32 v[18:19], v[6:7], s[26:27] op_sel_hi:[1,0]
	v_pk_fma_f32 v[58:59], v[32:33], s[18:19], v[20:21] op_sel:[0,0,1] op_sel_hi:[1,0,0]
	v_pk_fma_f32 v[50:51], v[4:5], s[20:21], v[18:19] op_sel:[0,0,1] op_sel_hi:[1,0,0]
	v_pk_fma_f32 v[52:53], v[4:5], s[20:21], v[18:19] op_sel:[0,0,1] op_sel_hi:[1,0,0] neg_lo:[0,0,1] neg_hi:[0,0,1]
	v_mov_b32_e32 v18, v50
	v_mov_b32_e32 v19, v53
	v_pk_add_f32 v[16:17], v[18:19], v[16:17]
	v_pk_mul_f32 v[18:19], v[2:3], s[22:23] op_sel_hi:[1,0]
	v_pk_fma_f32 v[84:85], v[32:33], s[18:19], v[20:21] op_sel:[0,0,1] op_sel_hi:[1,0,0] neg_lo:[0,0,1] neg_hi:[0,0,1]
	v_pk_fma_f32 v[54:55], v[24:25], s[20:21], v[18:19] op_sel:[0,0,1] op_sel_hi:[1,0,0]
	v_pk_fma_f32 v[56:57], v[24:25], s[20:21], v[18:19] op_sel:[0,0,1] op_sel_hi:[1,0,0] neg_lo:[0,0,1] neg_hi:[0,0,1]
	v_mov_b32_e32 v18, v54
	v_mov_b32_e32 v19, v57
	v_pk_add_f32 v[18:19], v[0:1], v[18:19]
	v_mov_b32_e32 v20, v58
	v_mov_b32_e32 v21, v85
	s_mov_b32 s24, 0x3f68dda4
	v_pk_add_f32 v[18:19], v[20:21], v[18:19]
	v_pk_mul_f32 v[20:21], v[30:31], s[24:25] op_sel_hi:[1,0]
	v_pk_mul_f32 v[22:23], v[14:15], s[16:17] op_sel_hi:[1,0]
	v_pk_fma_f32 v[86:87], v[28:29], s[2:3], v[20:21] op_sel:[0,0,1] op_sel_hi:[1,0,0]
	v_pk_fma_f32 v[88:89], v[28:29], s[2:3], v[20:21] op_sel:[0,0,1] op_sel_hi:[1,0,0] neg_lo:[0,0,1] neg_hi:[0,0,1]
	v_mov_b32_e32 v20, v86
	v_mov_b32_e32 v21, v89
	v_pk_add_f32 v[18:19], v[20:21], v[18:19]
	v_pk_mul_f32 v[20:21], v[6:7], s[30:31] op_sel_hi:[1,0]
	v_pk_fma_f32 v[100:101], v[8:9], s[12:13], v[22:23] op_sel:[0,0,1] op_sel_hi:[1,0,0]
	v_pk_fma_f32 v[90:91], v[4:5], s[28:29], v[20:21] op_sel:[0,0,1] op_sel_hi:[1,0,0]
	v_pk_fma_f32 v[92:93], v[4:5], s[28:29], v[20:21] op_sel:[0,0,1] op_sel_hi:[1,0,0] neg_lo:[0,0,1] neg_hi:[0,0,1]
	v_mov_b32_e32 v20, v90
	v_mov_b32_e32 v21, v93
	v_pk_add_f32 v[18:19], v[20:21], v[18:19]
	v_pk_mul_f32 v[20:21], v[14:15], s[34:35] op_sel_hi:[1,0]
	v_pk_fma_f32 v[102:103], v[8:9], s[12:13], v[22:23] op_sel:[0,0,1] op_sel_hi:[1,0,0] neg_lo:[0,0,1] neg_hi:[0,0,1]
	v_pk_fma_f32 v[94:95], v[8:9], s[28:29], v[20:21] op_sel:[0,0,1] op_sel_hi:[1,0,0]
	v_pk_fma_f32 v[98:99], v[8:9], s[28:29], v[20:21] op_sel:[0,0,1] op_sel_hi:[1,0,0] neg_lo:[0,0,1] neg_hi:[0,0,1]
	v_mov_b32_e32 v20, v94
	v_mov_b32_e32 v21, v99
	;; [unrolled: 1-line block ×4, first 2 shown]
	v_pk_add_f32 v[22:23], v[20:21], v[16:17]
	v_pk_mul_f32 v[16:17], v[2:3], s[16:17] op_sel_hi:[1,0]
	v_pk_add_f32 v[20:21], v[96:97], v[18:19]
	v_pk_fma_f32 v[104:105], v[24:25], s[12:13], v[16:17] op_sel:[0,0,1] op_sel_hi:[1,0,0]
	v_pk_fma_f32 v[106:107], v[24:25], s[12:13], v[16:17] op_sel:[0,0,1] op_sel_hi:[1,0,0] neg_lo:[0,0,1] neg_hi:[0,0,1]
	v_pk_mul_f32 v[18:19], v[34:35], s[26:27] op_sel_hi:[1,0]
	v_mov_b32_e32 v16, v104
	v_mov_b32_e32 v17, v107
	v_pk_fma_f32 v[108:109], v[32:33], s[20:21], v[18:19] op_sel:[0,0,1] op_sel_hi:[1,0,0]
	v_pk_fma_f32 v[110:111], v[32:33], s[20:21], v[18:19] op_sel:[0,0,1] op_sel_hi:[1,0,0] neg_lo:[0,0,1] neg_hi:[0,0,1]
	v_pk_add_f32 v[16:17], v[0:1], v[16:17]
	v_mov_b32_e32 v18, v108
	v_mov_b32_e32 v19, v111
	s_mov_b32 s26, 0xbe903f40
	v_pk_add_f32 v[16:17], v[18:19], v[16:17]
	v_pk_mul_f32 v[18:19], v[2:3], s[26:27] op_sel_hi:[1,0]
	v_pk_mul_f32 v[96:97], v[34:35], s[34:35] op_sel_hi:[1,0]
	v_pk_fma_f32 v[112:113], v[24:25], s[18:19], v[18:19] op_sel:[0,0,1] op_sel_hi:[1,0,0]
	v_pk_fma_f32 v[114:115], v[24:25], s[18:19], v[18:19] op_sel:[0,0,1] op_sel_hi:[1,0,0] neg_lo:[0,0,1] neg_hi:[0,0,1]
	v_mov_b32_e32 v18, v112
	v_mov_b32_e32 v19, v115
	v_pk_fma_f32 v[118:119], v[32:33], s[28:29], v[96:97] op_sel:[0,0,1] op_sel_hi:[1,0,0]
	v_pk_fma_f32 v[120:121], v[32:33], s[28:29], v[96:97] op_sel:[0,0,1] op_sel_hi:[1,0,0] neg_lo:[0,0,1] neg_hi:[0,0,1]
	v_pk_add_f32 v[18:19], v[0:1], v[18:19]
	v_mov_b32_e32 v96, v118
	v_mov_b32_e32 v97, v121
	v_pk_add_f32 v[18:19], v[96:97], v[18:19]
	v_pk_mul_f32 v[96:97], v[30:31], s[30:31] op_sel_hi:[1,0]
	v_pk_mul_f32 v[142:143], v[14:15], s[22:23] op_sel_hi:[1,0]
	v_pk_fma_f32 v[122:123], v[28:29], s[28:29], v[96:97] op_sel:[0,0,1] op_sel_hi:[1,0,0]
	v_pk_fma_f32 v[124:125], v[28:29], s[28:29], v[96:97] op_sel:[0,0,1] op_sel_hi:[1,0,0] neg_lo:[0,0,1] neg_hi:[0,0,1]
	v_mov_b32_e32 v96, v122
	v_mov_b32_e32 v97, v125
	v_pk_add_f32 v[16:17], v[96:97], v[16:17]
	v_pk_mul_f32 v[96:97], v[30:31], s[16:17] op_sel_hi:[1,0]
	v_pk_fma_f32 v[144:145], v[8:9], s[20:21], v[142:143] op_sel:[0,0,1] op_sel_hi:[1,0,0]
	v_pk_fma_f32 v[126:127], v[28:29], s[12:13], v[96:97] op_sel:[0,0,1] op_sel_hi:[1,0,0]
	v_pk_fma_f32 v[128:129], v[28:29], s[12:13], v[96:97] op_sel:[0,0,1] op_sel_hi:[1,0,0] neg_lo:[0,0,1] neg_hi:[0,0,1]
	v_mov_b32_e32 v96, v126
	v_mov_b32_e32 v97, v129
	v_pk_add_f32 v[18:19], v[96:97], v[18:19]
	v_pk_mul_f32 v[96:97], v[6:7], s[26:27] op_sel_hi:[1,0]
	v_pk_fma_f32 v[142:143], v[8:9], s[20:21], v[142:143] op_sel:[0,0,1] op_sel_hi:[1,0,0] neg_lo:[0,0,1] neg_hi:[0,0,1]
	v_pk_fma_f32 v[130:131], v[4:5], s[18:19], v[96:97] op_sel:[0,0,1] op_sel_hi:[1,0,0]
	v_pk_fma_f32 v[132:133], v[4:5], s[18:19], v[96:97] op_sel:[0,0,1] op_sel_hi:[1,0,0] neg_lo:[0,0,1] neg_hi:[0,0,1]
	v_mov_b32_e32 v96, v130
	v_mov_b32_e32 v97, v133
	v_pk_add_f32 v[16:17], v[96:97], v[16:17]
	v_pk_mul_f32 v[96:97], v[6:7], s[24:25] op_sel_hi:[1,0]
	v_mov_b32_e32 v146, v144
	v_pk_fma_f32 v[134:135], v[4:5], s[2:3], v[96:97] op_sel:[0,0,1] op_sel_hi:[1,0,0]
	v_pk_fma_f32 v[136:137], v[4:5], s[2:3], v[96:97] op_sel:[0,0,1] op_sel_hi:[1,0,0] neg_lo:[0,0,1] neg_hi:[0,0,1]
	v_mov_b32_e32 v96, v134
	v_mov_b32_e32 v97, v137
	v_pk_add_f32 v[96:97], v[96:97], v[18:19]
	v_pk_mul_f32 v[18:19], v[14:15], s[24:25] op_sel_hi:[1,0]
	v_mov_b32_e32 v147, v143
	v_pk_fma_f32 v[138:139], v[8:9], s[2:3], v[18:19] op_sel:[0,0,1] op_sel_hi:[1,0,0]
	v_pk_fma_f32 v[140:141], v[8:9], s[2:3], v[18:19] op_sel:[0,0,1] op_sel_hi:[1,0,0] neg_lo:[0,0,1] neg_hi:[0,0,1]
	v_mov_b32_e32 v18, v138
	v_mov_b32_e32 v19, v141
	v_pk_mul_f32 v[30:31], v[30:31], s[22:23] op_sel_hi:[1,0]
	v_pk_mul_f32 v[6:7], v[6:7], s[16:17] op_sel_hi:[1,0]
	v_pk_add_f32 v[18:19], v[18:19], v[16:17]
	v_pk_add_f32 v[16:17], v[146:147], v[96:97]
	v_pk_fma_f32 v[96:97], v[28:29], s[20:21], v[30:31] op_sel:[0,0,1] op_sel_hi:[1,0,0]
	v_pk_fma_f32 v[28:29], v[28:29], s[20:21], v[30:31] op_sel:[0,0,1] op_sel_hi:[1,0,0] neg_lo:[0,0,1] neg_hi:[0,0,1]
	v_pk_fma_f32 v[30:31], v[4:5], s[12:13], v[6:7] op_sel:[0,0,1] op_sel_hi:[1,0,0]
	v_pk_fma_f32 v[4:5], v[4:5], s[12:13], v[6:7] op_sel:[0,0,1] op_sel_hi:[1,0,0] neg_lo:[0,0,1] neg_hi:[0,0,1]
	v_pk_mul_f32 v[6:7], v[14:15], s[26:27] op_sel_hi:[1,0]
	v_pk_mul_f32 v[2:3], v[2:3], s[30:31] op_sel_hi:[1,0]
	v_pk_fma_f32 v[14:15], v[8:9], s[18:19], v[6:7] op_sel:[0,0,1] op_sel_hi:[1,0,0]
	v_pk_fma_f32 v[6:7], v[8:9], s[18:19], v[6:7] op_sel:[0,0,1] op_sel_hi:[1,0,0] neg_lo:[0,0,1] neg_hi:[0,0,1]
	v_pk_fma_f32 v[8:9], v[24:25], s[28:29], v[2:3] op_sel:[0,0,1] op_sel_hi:[1,0,0]
	v_pk_fma_f32 v[2:3], v[24:25], s[28:29], v[2:3] op_sel:[0,0,1] op_sel_hi:[1,0,0] neg_lo:[0,0,1] neg_hi:[0,0,1]
	v_pk_mul_f32 v[24:25], v[34:35], s[14:15] op_sel_hi:[1,0]
	v_pk_add_f32 v[12:13], v[12:13], v[36:37]
	v_pk_fma_f32 v[34:35], v[32:33], s[2:3], v[24:25] op_sel:[0,0,1] op_sel_hi:[1,0,0]
	v_pk_fma_f32 v[24:25], v[32:33], s[2:3], v[24:25] op_sel:[0,0,1] op_sel_hi:[1,0,0] neg_lo:[0,0,1] neg_hi:[0,0,1]
	v_mov_b32_e32 v33, v3
	v_mov_b32_e32 v3, v9
	v_pk_add_f32 v[2:3], v[0:1], v[2:3]
	v_mov_b32_e32 v9, v25
	v_mov_b32_e32 v25, v35
	v_pk_add_f32 v[2:3], v[24:25], v[2:3]
	;; [unrolled: 3-line block ×4, first 2 shown]
	v_mov_b32_e32 v5, v7
	v_mov_b32_e32 v7, v15
	v_mul_lo_u16_e32 v4, 11, v116
	v_pk_add_f32 v[2:3], v[6:7], v[2:3]
	v_lshl_add_u32 v97, v4, 3, v117
	v_mov_b32_e32 v39, v27
	v_mov_b32_e32 v57, v55
	s_barrier
	ds_write2_b64 v97, v[12:13], v[2:3] offset1:1
	v_mov_b32_e32 v43, v41
	v_pk_add_f32 v[2:3], v[0:1], v[38:39]
	v_mov_b32_e32 v85, v59
	v_pk_add_f32 v[6:7], v[0:1], v[56:57]
	;; [unrolled: 2-line block ×8, first 2 shown]
	v_pk_add_f32 v[2:3], v[98:99], v[2:3]
	v_pk_add_f32 v[6:7], v[102:103], v[6:7]
	v_mov_b32_e32 v32, v8
	v_mov_b32_e32 v107, v105
	;; [unrolled: 1-line block ×3, first 2 shown]
	ds_write2_b64 v97, v[2:3], v[6:7] offset0:2 offset1:3
	v_pk_add_f32 v[2:3], v[0:1], v[32:33]
	v_pk_add_f32 v[6:7], v[0:1], v[106:107]
	;; [unrolled: 1-line block ×3, first 2 shown]
	v_mov_b32_e32 v111, v109
	v_mov_b32_e32 v121, v119
	;; [unrolled: 1-line block ×4, first 2 shown]
	v_pk_add_f32 v[6:7], v[110:111], v[6:7]
	v_mov_b32_e32 v129, v127
	v_pk_add_f32 v[0:1], v[120:121], v[0:1]
	v_mov_b32_e32 v24, v96
	;; [unrolled: 2-line block ×8, first 2 shown]
	v_pk_add_f32 v[2:3], v[28:29], v[2:3]
	v_pk_add_f32 v[6:7], v[140:141], v[6:7]
	;; [unrolled: 1-line block ×4, first 2 shown]
	ds_write2_b64 v97, v[6:7], v[0:1] offset0:4 offset1:5
	ds_write2_b64 v97, v[16:17], v[18:19] offset0:6 offset1:7
	;; [unrolled: 1-line block ×3, first 2 shown]
	ds_write_b64 v97, v[28:29] offset:80
	v_add_u32_e32 v0, 0x400, v69
	s_waitcnt lgkmcnt(0)
	s_barrier
	ds_read2_b64 v[36:39], v0 offset0:114 offset1:235
	v_add_u32_e32 v0, 0xc00, v69
	s_load_dwordx2 s[2:3], s[0:1], 0x38
	ds_read2_b64 v[24:27], v69 offset1:121
	ds_read2_b64 v[32:35], v0 offset0:100 offset1:221
                                        ; implicit-def: $vgpr40
	s_and_saveexec_b64 s[0:1], vcc
	s_cbranch_execz .LBB0_3
; %bb.2:
	ds_read2_b64 v[16:19], v69 offset0:66 offset1:187
	ds_read2_b64 v[28:31], v11 offset0:38 offset1:159
	;; [unrolled: 1-line block ×3, first 2 shown]
	s_waitcnt lgkmcnt(0)
	v_mov_b32_e32 v40, v31
.LBB0_3:
	s_or_b64 exec, exec, s[0:1]
	s_movk_i32 s12, 0x75
	v_mul_lo_u16_sdwa v0, v116, s12 dst_sel:DWORD dst_unused:UNUSED_PAD src0_sel:BYTE_0 src1_sel:DWORD
	v_sub_u16_sdwa v1, v116, v0 dst_sel:DWORD dst_unused:UNUSED_PAD src0_sel:DWORD src1_sel:BYTE_1
	v_lshrrev_b16_e32 v1, 1, v1
	v_and_b32_e32 v1, 0x7f, v1
	v_add_u16_sdwa v0, v1, v0 dst_sel:DWORD dst_unused:UNUSED_PAD src0_sel:DWORD src1_sel:BYTE_1
	v_lshrrev_b16_e32 v31, 3, v0
	v_mul_lo_u16_e32 v0, 11, v31
	v_sub_u16_e32 v0, v116, v0
	v_and_b32_e32 v41, 0xff, v0
	v_add_u16_e32 v0, 0x42, v116
	v_mul_lo_u16_sdwa v1, v0, s12 dst_sel:DWORD dst_unused:UNUSED_PAD src0_sel:BYTE_0 src1_sel:DWORD
	v_sub_u16_sdwa v2, v0, v1 dst_sel:DWORD dst_unused:UNUSED_PAD src0_sel:DWORD src1_sel:BYTE_1
	v_lshrrev_b16_e32 v2, 1, v2
	v_and_b32_e32 v2, 0x7f, v2
	v_add_u16_sdwa v1, v2, v1 dst_sel:DWORD dst_unused:UNUSED_PAD src0_sel:DWORD src1_sel:BYTE_1
	v_lshrrev_b16_e32 v118, 3, v1
	v_mul_lo_u16_e32 v1, 11, v118
	v_sub_u16_e32 v0, v0, v1
	v_mad_u64_u32 v[42:43], s[0:1], v41, 40, s[10:11]
	v_and_b32_e32 v119, 0xff, v0
	global_load_dwordx4 v[8:11], v[42:43], off offset:16
	global_load_dwordx4 v[12:15], v[42:43], off
	v_mad_u64_u32 v[46:47], s[0:1], v119, 40, s[10:11]
	global_load_dwordx4 v[0:3], v[46:47], off
	global_load_dwordx4 v[4:7], v[46:47], off offset:16
	global_load_dwordx2 v[84:85], v[46:47], off offset:32
	global_load_dwordx2 v[86:87], v[42:43], off offset:32
	v_mul_u32_u24_e32 v31, 0x42, v31
	v_add_u32_e32 v31, v31, v41
	v_lshl_add_u32 v120, v31, 3, v117
	s_mov_b32 s0, 0x3f5db3d7
	s_mov_b32 s1, 0xbf5db3d7
	v_mov_b32_e32 v45, 0
	s_waitcnt lgkmcnt(0)
	s_barrier
	s_waitcnt vmcnt(5)
	v_mov_b32_e32 v88, v11
	s_waitcnt vmcnt(4)
	v_mov_b32_e32 v92, v15
	s_waitcnt vmcnt(3)
	v_pk_mul_f32 v[42:43], v[18:19], v[0:1] op_sel_hi:[0,1]
	v_pk_mul_f32 v[46:47], v[20:21], v[2:3] op_sel:[1,0]
	s_waitcnt vmcnt(2)
	v_pk_mul_f32 v[48:49], v[22:23], v[4:5] op_sel_hi:[0,1]
	v_pk_mul_f32 v[50:51], v[28:29], v[6:7] op_sel:[1,0]
	;; [unrolled: 3-line block ×3, first 2 shown]
	v_pk_mul_f32 v[56:57], v[38:39], v[8:9] op_sel:[0,1]
	v_pk_fma_f32 v[30:31], v[18:19], v[0:1], v[42:43] op_sel:[1,0,1] op_sel_hi:[1,1,0]
	v_pk_fma_f32 v[98:99], v[18:19], v[0:1], v[42:43] op_sel:[1,0,1] op_sel_hi:[1,1,0] neg_lo:[1,0,0] neg_hi:[1,0,0]
	v_pk_fma_f32 v[42:43], v[20:21], v[2:3], v[46:47] op_sel:[0,0,1] op_sel_hi:[1,1,0] neg_lo:[0,0,1] neg_hi:[0,0,1]
	v_pk_fma_f32 v[46:47], v[20:21], v[2:3], v[46:47] op_sel:[0,0,1] op_sel_hi:[0,1,0]
	v_pk_fma_f32 v[18:19], v[22:23], v[4:5], v[48:49] op_sel:[1,0,1] op_sel_hi:[1,1,0]
	v_pk_fma_f32 v[48:49], v[22:23], v[4:5], v[48:49] op_sel:[1,0,1] op_sel_hi:[1,1,0] neg_lo:[1,0,0] neg_hi:[1,0,0]
	v_pk_fma_f32 v[22:23], v[28:29], v[6:7], v[50:51] op_sel:[0,0,1] op_sel_hi:[1,1,0] neg_lo:[0,0,1] neg_hi:[0,0,1]
	v_pk_fma_f32 v[28:29], v[28:29], v[6:7], v[50:51] op_sel:[0,0,1] op_sel_hi:[0,1,0]
	;; [unrolled: 4-line block ×3, first 2 shown]
	v_pk_mul_f32 v[52:53], v[36:37], v[92:93] op_sel_hi:[1,0]
	v_pk_fma_f32 v[54:55], v[38:39], v[8:9], v[56:57] op_sel:[0,0,1] op_sel_hi:[1,1,0] neg_lo:[0,0,1] neg_hi:[0,0,1]
	v_pk_fma_f32 v[38:39], v[38:39], v[8:9], v[56:57] op_sel:[0,0,1] op_sel_hi:[1,0,0]
	v_pk_mul_f32 v[56:57], v[32:33], v[88:89] op_sel_hi:[1,0]
	s_waitcnt vmcnt(0)
	v_pk_mul_f32 v[58:59], v[34:35], v[86:87] op_sel:[0,1]
	v_mov_b32_e32 v43, v47
	v_mov_b32_e32 v19, v49
	;; [unrolled: 1-line block ×4, first 2 shown]
	v_pk_fma_f32 v[46:47], v[36:37], v[14:15], v[52:53] op_sel:[0,0,1] op_sel_hi:[1,1,0] neg_lo:[0,0,1] neg_hi:[0,0,1]
	v_pk_fma_f32 v[26:27], v[36:37], v[14:15], v[52:53] op_sel:[0,0,1] op_sel_hi:[1,0,0]
	v_pk_fma_f32 v[48:49], v[32:33], v[10:11], v[56:57] op_sel:[0,0,1] op_sel_hi:[1,1,0] neg_lo:[0,0,1] neg_hi:[0,0,1]
	v_pk_fma_f32 v[28:29], v[32:33], v[10:11], v[56:57] op_sel:[0,0,1] op_sel_hi:[1,0,0]
	;; [unrolled: 2-line block ×3, first 2 shown]
	v_mov_b32_e32 v47, v27
	v_mov_b32_e32 v49, v29
	;; [unrolled: 1-line block ×6, first 2 shown]
	v_pk_add_f32 v[98:99], v[46:47], v[48:49]
	v_pk_add_f32 v[32:33], v[42:43], v[22:23]
	;; [unrolled: 1-line block ×3, first 2 shown]
	v_pk_add_f32 v[38:39], v[18:19], v[20:21] neg_lo:[0,1] neg_hi:[0,1]
	v_pk_add_f32 v[52:53], v[24:25], v[46:47]
	v_pk_fma_f32 v[24:25], v[98:99], 0.5, v[24:25] op_sel_hi:[1,0,1] neg_lo:[1,0,0] neg_hi:[1,0,0]
	v_pk_add_f32 v[98:99], v[54:55], v[100:101]
	v_pk_add_f32 v[34:35], v[42:43], v[22:23] neg_lo:[0,1] neg_hi:[0,1]
	v_pk_fma_f32 v[26:27], v[32:33], 0.5, v[16:17] op_sel_hi:[1,0,1] neg_lo:[1,0,0] neg_hi:[1,0,0]
	v_pk_fma_f32 v[32:33], v[36:37], 0.5, v[30:31] op_sel_hi:[1,0,1] neg_lo:[1,0,0] neg_hi:[1,0,0]
	v_pk_mul_f32 v[40:41], v[38:39], s[0:1] op_sel_hi:[1,0]
	v_pk_add_f32 v[56:57], v[50:51], v[54:55]
	v_pk_fma_f32 v[50:51], v[98:99], 0.5, v[50:51] op_sel_hi:[1,0,1] neg_lo:[1,0,0] neg_hi:[1,0,0]
	v_pk_add_f32 v[54:55], v[54:55], v[100:101] neg_lo:[0,1] neg_hi:[0,1]
	v_pk_mul_f32 v[28:29], v[34:35], s[0:1] op_sel_hi:[1,0]
	v_pk_add_f32 v[38:39], v[32:33], v[40:41] op_sel:[0,1] op_sel_hi:[1,0]
	v_pk_add_f32 v[40:41], v[32:33], v[40:41] op_sel:[0,1] op_sel_hi:[1,0] neg_lo:[0,1] neg_hi:[0,1]
	v_pk_add_f32 v[46:47], v[46:47], v[48:49] neg_lo:[0,1] neg_hi:[0,1]
	v_pk_fma_f32 v[98:99], v[54:55], s[0:1], v[50:51] op_sel:[0,0,1] op_sel_hi:[1,0,0]
	v_pk_fma_f32 v[50:51], v[54:55], s[0:1], v[50:51] op_sel:[0,0,1] op_sel_hi:[1,0,0] neg_lo:[1,0,0] neg_hi:[1,0,0]
	v_pk_add_f32 v[34:35], v[26:27], v[28:29] op_sel:[0,1] op_sel_hi:[1,0] neg_lo:[0,1] neg_hi:[0,1]
	v_pk_add_f32 v[36:37], v[26:27], v[28:29] op_sel:[0,1] op_sel_hi:[1,0]
	v_mov_b32_e32 v26, v38
	v_mov_b32_e32 v27, v41
	v_pk_mul_f32 v[46:47], v[46:47], s[0:1] op_sel_hi:[1,0]
	v_mov_b32_e32 v54, v98
	v_mov_b32_e32 v55, v51
	v_mul_f32_e32 v11, 0xbf5db3d7, v99
	v_mov_b32_e32 v90, v9
	v_pk_mul_f32 v[32:33], v[26:27], 0.5 op_sel_hi:[1,0]
	v_pk_add_f32 v[52:53], v[52:53], v[48:49]
	v_pk_add_f32 v[48:49], v[46:47], v[24:25] op_sel:[1,0] op_sel_hi:[0,1]
	v_pk_add_f32 v[24:25], v[24:25], v[46:47] op_sel:[0,1] op_sel_hi:[1,0] neg_lo:[0,1] neg_hi:[0,1]
	v_mul_f32_e32 v9, 0x3f5db3d7, v50
	v_fmac_f32_e32 v11, 0.5, v50
	v_pk_mul_f32 v[50:51], v[54:55], 0.5 op_sel_hi:[1,0]
	v_mov_b32_e32 v28, v34
	v_mov_b32_e32 v29, v37
	v_pk_fma_f32 v[32:33], v[26:27], s[0:1], v[32:33] op_sel:[0,0,1] op_sel_hi:[1,1,0] neg_lo:[0,0,1] neg_hi:[0,0,1]
	v_pk_add_f32 v[56:57], v[56:57], v[100:101]
	v_mov_b32_e32 v46, v24
	v_mov_b32_e32 v47, v49
	v_fmac_f32_e32 v9, 0.5, v99
	v_pk_fma_f32 v[50:51], v[54:55], s[0:1], v[50:51] op_sel:[0,0,1] op_sel_hi:[1,1,0] neg_lo:[0,0,1] neg_hi:[0,0,1]
	v_mov_b32_e32 v94, v13
	v_pk_add_f32 v[26:27], v[28:29], v[32:33] neg_lo:[0,1] neg_hi:[0,1]
	v_pk_add_f32 v[58:59], v[52:53], v[56:57]
	v_add_f32_e32 v98, v48, v9
	v_add_f32_e32 v99, v25, v11
	v_pk_add_f32 v[54:55], v[46:47], v[50:51]
	v_sub_f32_e32 v24, v48, v9
	v_sub_f32_e32 v25, v25, v11
	v_pk_add_f32 v[48:49], v[52:53], v[56:57] neg_lo:[0,1] neg_hi:[0,1]
	v_pk_add_f32 v[46:47], v[46:47], v[50:51] neg_lo:[0,1] neg_hi:[0,1]
	ds_write2_b64 v120, v[58:59], v[98:99] offset1:11
	ds_write2_b64 v120, v[54:55], v[48:49] offset0:22 offset1:33
	ds_write2_b64 v120, v[24:25], v[46:47] offset0:44 offset1:55
	s_and_saveexec_b64 s[0:1], vcc
	s_cbranch_execz .LBB0_5
; %bb.4:
	v_mul_f32_e32 v9, 0x3f5db3d7, v39
	v_fma_f32 v9, v40, 0.5, -v9
	v_sub_f32_e32 v25, v35, v9
	v_mul_f32_e32 v11, 0x3f5db3d7, v40
	v_add_f32_e32 v35, v35, v9
	v_mul_u32_u24_e32 v9, 0x42, v118
	v_pk_add_f32 v[16:17], v[16:17], v[42:43]
	v_pk_add_f32 v[18:19], v[30:31], v[18:19]
	v_fmac_f32_e32 v11, 0.5, v39
	v_add_u32_e32 v9, v9, v119
	v_pk_add_f32 v[16:17], v[16:17], v[22:23]
	v_pk_add_f32 v[18:19], v[18:19], v[20:21]
	v_add_f32_e32 v34, v36, v11
	v_lshl_add_u32 v9, v9, 3, v117
	v_pk_add_f32 v[20:21], v[16:17], v[18:19] op_sel:[0,1] op_sel_hi:[1,0]
	ds_write2_b64 v9, v[20:21], v[34:35] offset1:11
	v_pk_add_f32 v[20:21], v[28:29], v[32:33]
	v_pk_add_f32 v[16:17], v[16:17], v[18:19] op_sel:[0,1] op_sel_hi:[1,0] neg_lo:[0,1] neg_hi:[0,1]
	v_sub_f32_e32 v24, v36, v11
	ds_write2_b64 v9, v[20:21], v[16:17] offset0:22 offset1:33
	ds_write2_b64 v9, v[24:25], v[26:27] offset0:44 offset1:55
.LBB0_5:
	s_or_b64 exec, exec, s[0:1]
	s_movk_i32 s0, 0x50
	v_mov_b64_e32 v[16:17], s[10:11]
	v_mad_u64_u32 v[24:25], s[0:1], v116, s0, v[16:17]
	s_waitcnt lgkmcnt(0)
	s_barrier
	global_load_dwordx4 v[16:19], v[24:25], off offset:488
	global_load_dwordx4 v[28:31], v[24:25], off offset:472
	;; [unrolled: 1-line block ×5, first 2 shown]
	ds_read2_b64 v[46:49], v69 offset0:132 offset1:198
	ds_read2_b64 v[40:43], v69 offset1:66
	v_add_u32_e32 v99, 0x800, v69
	v_add_u32_e32 v101, 0x1000, v69
	ds_read_b64 v[24:25], v69 offset:5280
	ds_read2_b64 v[50:53], v99 offset0:8 offset1:74
	ds_read2_b64 v[54:57], v99 offset0:140 offset1:206
	;; [unrolled: 1-line block ×3, first 2 shown]
	s_mov_b32 s10, 0xbf0a6770
	s_mov_b32 s11, 0x3f575c64
	;; [unrolled: 1-line block ×35, first 2 shown]
	v_lshl_add_u64 v[44:45], s[8:9], 0, v[44:45]
	s_movk_i32 s0, 0x1000
	v_mov_b32_e32 v13, v12
	v_mov_b32_e32 v95, v94
	;; [unrolled: 1-line block ×7, first 2 shown]
	s_waitcnt vmcnt(4)
	v_mov_b32_e32 v98, v19
	s_waitcnt vmcnt(3)
	v_mov_b32_e32 v100, v31
	;; [unrolled: 2-line block ×4, first 2 shown]
	s_waitcnt lgkmcnt(4)
	v_pk_mul_f32 v[110:111], v[42:43], v[20:21] op_sel:[1,0] op_sel_hi:[0,1]
	v_pk_mul_f32 v[112:113], v[48:49], v[36:37] op_sel:[0,1]
	v_mov_b32_e32 v104, v23
	s_waitcnt vmcnt(0)
	v_mov_b32_e32 v96, v35
	s_waitcnt lgkmcnt(2)
	v_pk_mul_f32 v[114:115], v[52:53], v[28:29] op_sel:[0,1]
	s_waitcnt lgkmcnt(0)
	v_pk_mul_f32 v[124:125], v[108:109], v[32:33] op_sel:[0,1]
	v_pk_mul_f32 v[58:59], v[42:43], v[58:59] op_sel:[1,0] op_sel_hi:[0,1]
	v_mov_b32_e32 v110, v111
	v_pk_fma_f32 v[128:129], v[48:49], v[36:37], v[112:113] op_sel:[0,0,1] op_sel_hi:[1,1,0] neg_lo:[0,0,1] neg_hi:[0,0,1]
	v_pk_fma_f32 v[48:49], v[48:49], v[36:37], v[112:113] op_sel:[0,0,1] op_sel_hi:[1,0,0]
	v_pk_mul_f32 v[112:113], v[50:51], v[102:103] op_sel_hi:[1,0]
	v_pk_mul_f32 v[126:127], v[46:47], v[104:105] op_sel_hi:[1,0]
	v_pk_fma_f32 v[130:131], v[52:53], v[28:29], v[114:115] op_sel:[0,0,1] op_sel_hi:[1,1,0] neg_lo:[0,0,1] neg_hi:[0,0,1]
	v_pk_fma_f32 v[52:53], v[52:53], v[28:29], v[114:115] op_sel:[0,0,1] op_sel_hi:[1,0,0]
	v_pk_mul_f32 v[114:115], v[54:55], v[100:101] op_sel_hi:[1,0]
	v_pk_fma_f32 v[134:135], v[108:109], v[32:33], v[124:125] op_sel:[0,0,1] op_sel_hi:[1,1,0] neg_lo:[0,0,1] neg_hi:[0,0,1]
	v_pk_fma_f32 v[108:109], v[108:109], v[32:33], v[124:125] op_sel:[0,0,1] op_sel_hi:[1,0,0]
	v_pk_mul_f32 v[124:125], v[24:25], v[96:97] op_sel_hi:[1,0]
	v_pk_fma_f32 v[58:59], v[42:43], v[20:21], v[58:59] neg_lo:[0,0,1] neg_hi:[0,0,1]
	v_pk_fma_f32 v[42:43], v[42:43], v[20:21], v[110:111] op_sel:[1,0,0] op_sel_hi:[0,1,1]
	v_mov_b32_e32 v129, v49
	v_pk_fma_f32 v[48:49], v[50:51], v[38:39], v[112:113] op_sel:[0,0,1] op_sel_hi:[1,1,0] neg_lo:[0,0,1] neg_hi:[0,0,1]
	v_pk_fma_f32 v[50:51], v[50:51], v[38:39], v[112:113] op_sel:[0,0,1] op_sel_hi:[1,0,0]
	v_pk_mul_f32 v[122:123], v[56:57], v[16:17] op_sel:[0,1]
	v_pk_fma_f32 v[110:111], v[46:47], v[22:23], v[126:127] op_sel:[0,0,1] op_sel_hi:[1,1,0] neg_lo:[0,0,1] neg_hi:[0,0,1]
	v_pk_fma_f32 v[46:47], v[46:47], v[22:23], v[126:127] op_sel:[0,0,1] op_sel_hi:[1,0,0]
	v_mov_b32_e32 v131, v53
	v_pk_fma_f32 v[52:53], v[54:55], v[30:31], v[114:115] op_sel:[0,0,1] op_sel_hi:[1,1,0] neg_lo:[0,0,1] neg_hi:[0,0,1]
	v_pk_fma_f32 v[54:55], v[54:55], v[30:31], v[114:115] op_sel:[0,0,1] op_sel_hi:[1,0,0]
	v_mov_b32_e32 v135, v109
	;; [unrolled: 3-line block ×3, first 2 shown]
	v_mov_b32_e32 v50, v58
	v_mov_b32_e32 v51, v42
	v_pk_fma_f32 v[132:133], v[56:57], v[16:17], v[122:123] op_sel:[0,0,1] op_sel_hi:[1,1,0] neg_lo:[0,0,1] neg_hi:[0,0,1]
	v_pk_fma_f32 v[56:57], v[56:57], v[16:17], v[122:123] op_sel:[0,0,1] op_sel_hi:[1,0,0]
	v_pk_mul_f32 v[122:123], v[106:107], v[98:99] op_sel_hi:[1,0]
	v_mov_b32_e32 v111, v47
	v_mov_b32_e32 v53, v55
	v_pk_add_f32 v[114:115], v[58:59], v[108:109]
	v_pk_add_f32 v[54:55], v[58:59], v[108:109] neg_lo:[0,1] neg_hi:[0,1]
	v_mov_b32_e32 v58, v25
	v_pk_add_f32 v[50:51], v[40:41], v[50:51]
	v_mov_b32_e32 v133, v57
	v_pk_fma_f32 v[56:57], v[106:107], v[18:19], v[122:123] op_sel:[0,0,1] op_sel_hi:[1,1,0] neg_lo:[0,0,1] neg_hi:[0,0,1]
	v_pk_fma_f32 v[106:107], v[106:107], v[18:19], v[122:123] op_sel:[0,0,1] op_sel_hi:[1,0,0]
	v_mov_b32_e32 v9, v42
	v_pk_add_f32 v[122:123], v[42:43], v[58:59] neg_lo:[0,1] neg_hi:[0,1]
	v_pk_add_f32 v[42:43], v[50:51], v[110:111]
	v_mov_b32_e32 v57, v107
	v_pk_add_f32 v[42:43], v[42:43], v[128:129]
	v_mov_b32_e32 v46, v108
	;; [unrolled: 2-line block ×3, first 2 shown]
	v_pk_add_f32 v[42:43], v[42:43], v[130:131]
	v_pk_add_f32 v[24:25], v[8:9], v[24:25]
	;; [unrolled: 1-line block ×3, first 2 shown]
	v_mov_b32_e32 v115, v54
	v_pk_add_f32 v[42:43], v[42:43], v[132:133]
	v_pk_add_f32 v[126:127], v[128:129], v[56:57]
	;; [unrolled: 1-line block ×3, first 2 shown]
	v_pk_add_f32 v[106:107], v[128:129], v[56:57] neg_lo:[0,1] neg_hi:[0,1]
	v_pk_add_f32 v[42:43], v[42:43], v[134:135]
	v_mov_b32_e32 v24, v122
	v_pk_add_f32 v[128:129], v[42:43], v[46:47]
	v_pk_mul_f32 v[46:47], v[114:115], s[26:27]
	v_pk_add_f32 v[136:137], v[48:49], v[132:133]
	v_pk_add_f32 v[108:109], v[48:49], v[132:133] neg_lo:[0,1] neg_hi:[0,1]
	v_pk_fma_f32 v[48:49], v[122:123], s[10:11], v[46:47] neg_lo:[1,0,0] neg_hi:[1,0,0]
	v_pk_fma_f32 v[42:43], v[24:25], s[10:11], v[46:47]
	v_pk_add_f32 v[124:125], v[110:111], v[134:135]
	v_pk_add_f32 v[58:59], v[110:111], v[134:135] neg_lo:[0,1] neg_hi:[0,1]
	v_mov_b32_e32 v49, v43
	v_pk_add_f32 v[54:55], v[40:41], v[48:49]
	v_mov_b32_e32 v49, v125
	v_mov_b32_e32 v125, v58
	v_pk_add_f32 v[138:139], v[130:131], v[52:53]
	v_pk_add_f32 v[140:141], v[130:131], v[52:53] neg_lo:[0,1] neg_hi:[0,1]
	v_mov_b32_e32 v48, v59
	v_pk_mul_f32 v[52:53], v[124:125], s[42:43]
	v_pk_mul_f32 v[142:143], v[124:125], s[36:37]
	v_pk_fma_f32 v[56:57], v[48:49], s[18:19], v[52:53] neg_lo:[1,0,0] neg_hi:[1,0,0]
	v_pk_fma_f32 v[50:51], v[48:49], s[18:19], v[52:53]
	v_pk_fma_f32 v[144:145], v[48:49], s[14:15], v[142:143] neg_lo:[1,0,0] neg_hi:[1,0,0]
	v_mov_b32_e32 v57, v51
	v_pk_add_f32 v[110:111], v[56:57], v[54:55]
	v_mov_b32_e32 v55, v127
	v_mov_b32_e32 v127, v106
	;; [unrolled: 1-line block ×3, first 2 shown]
	v_pk_mul_f32 v[58:59], v[126:127], s[30:31]
	v_pk_fma_f32 v[146:147], v[48:49], s[14:15], v[142:143]
	v_pk_fma_f32 v[106:107], v[54:55], s[12:13], v[58:59] neg_lo:[1,0,0] neg_hi:[1,0,0]
	v_pk_fma_f32 v[56:57], v[54:55], s[12:13], v[58:59]
	v_mov_b32_e32 v145, v147
	v_mov_b32_e32 v107, v57
	v_pk_add_f32 v[112:113], v[106:107], v[110:111]
	v_mov_b32_e32 v107, v137
	v_mov_b32_e32 v137, v108
	;; [unrolled: 1-line block ×3, first 2 shown]
	v_pk_mul_f32 v[110:111], v[136:137], s[36:37]
	v_pk_mul_f32 v[164:165], v[124:125], s[46:47]
	v_pk_fma_f32 v[130:131], v[106:107], s[14:15], v[110:111] neg_lo:[1,0,0] neg_hi:[1,0,0]
	v_pk_fma_f32 v[108:109], v[106:107], s[14:15], v[110:111]
	v_pk_fma_f32 v[166:167], v[48:49], s[28:29], v[164:165] neg_lo:[1,0,0] neg_hi:[1,0,0]
	v_mov_b32_e32 v131, v109
	v_pk_add_f32 v[130:131], v[130:131], v[112:113]
	v_mov_b32_e32 v113, v139
	v_mov_b32_e32 v139, v140
	;; [unrolled: 1-line block ×3, first 2 shown]
	v_pk_mul_f32 v[132:133], v[138:139], s[34:35]
	v_pk_fma_f32 v[168:169], v[48:49], s[28:29], v[164:165]
	v_pk_fma_f32 v[134:135], v[112:113], s[16:17], v[132:133] neg_lo:[1,0,0] neg_hi:[1,0,0]
	v_pk_fma_f32 v[140:141], v[112:113], s[16:17], v[132:133]
	v_mov_b32_e32 v167, v169
	v_mov_b32_e32 v135, v141
	v_pk_add_f32 v[130:131], v[134:135], v[130:131]
	ds_write2_b64 v69, v[128:129], v[130:131] offset1:66
	v_pk_mul_f32 v[128:129], v[114:115], s[42:43]
	v_pk_mul_f32 v[182:183], v[124:125], s[38:39]
	v_pk_fma_f32 v[130:131], v[122:123], s[18:19], v[128:129] neg_lo:[1,0,0] neg_hi:[1,0,0]
	v_pk_fma_f32 v[134:135], v[24:25], s[18:19], v[128:129]
	v_pk_fma_f32 v[184:185], v[48:49], s[22:23], v[182:183] neg_lo:[1,0,0] neg_hi:[1,0,0]
	v_mov_b32_e32 v131, v135
	v_pk_add_f32 v[130:131], v[40:41], v[130:131]
	v_pk_fma_f32 v[186:187], v[48:49], s[22:23], v[182:183]
	v_pk_add_f32 v[130:131], v[144:145], v[130:131]
	v_pk_mul_f32 v[144:145], v[126:127], s[46:47]
	v_mov_b32_e32 v185, v187
	v_pk_fma_f32 v[148:149], v[54:55], s[28:29], v[144:145] neg_lo:[1,0,0] neg_hi:[1,0,0]
	v_pk_fma_f32 v[150:151], v[54:55], s[28:29], v[144:145]
	v_pk_mul_f32 v[124:125], v[124:125], s[44:45]
	v_mov_b32_e32 v149, v151
	v_pk_add_f32 v[130:131], v[148:149], v[130:131]
	v_pk_mul_f32 v[148:149], v[136:137], s[38:39]
	v_pk_fma_f32 v[200:201], v[48:49], s[20:21], v[124:125] neg_lo:[1,0,0] neg_hi:[1,0,0]
	v_pk_fma_f32 v[152:153], v[106:107], s[22:23], v[148:149] neg_lo:[1,0,0] neg_hi:[1,0,0]
	v_pk_fma_f32 v[154:155], v[106:107], s[22:23], v[148:149]
	v_pk_fma_f32 v[202:203], v[48:49], s[20:21], v[124:125]
	v_mov_b32_e32 v153, v155
	v_pk_add_f32 v[130:131], v[152:153], v[130:131]
	v_pk_mul_f32 v[152:153], v[138:139], s[44:45]
	v_mov_b32_e32 v201, v203
	v_pk_fma_f32 v[156:157], v[112:113], s[20:21], v[152:153] neg_lo:[1,0,0] neg_hi:[1,0,0]
	v_pk_fma_f32 v[158:159], v[112:113], s[20:21], v[152:153]
	v_add_u32_e32 v19, 0x400, v69
	v_mov_b32_e32 v157, v159
	v_pk_add_f32 v[130:131], v[156:157], v[130:131]
	v_pk_mul_f32 v[156:157], v[114:115], s[30:31]
	s_nop 0
	v_pk_fma_f32 v[160:161], v[122:123], s[12:13], v[156:157] neg_lo:[1,0,0] neg_hi:[1,0,0]
	v_pk_fma_f32 v[162:163], v[24:25], s[12:13], v[156:157]
	s_nop 0
	v_mov_b32_e32 v161, v163
	v_pk_add_f32 v[160:161], v[40:41], v[160:161]
	s_nop 0
	v_pk_add_f32 v[160:161], v[166:167], v[160:161]
	v_pk_mul_f32 v[166:167], v[126:127], s[40:41]
	s_nop 0
	v_pk_fma_f32 v[170:171], v[54:55], s[24:25], v[166:167] neg_lo:[1,0,0] neg_hi:[1,0,0]
	v_pk_fma_f32 v[172:173], v[54:55], s[24:25], v[166:167]
	s_nop 0
	v_mov_b32_e32 v171, v173
	v_pk_add_f32 v[160:161], v[170:171], v[160:161]
	v_pk_mul_f32 v[170:171], v[136:137], s[26:27]
	s_nop 0
	v_pk_fma_f32 v[174:175], v[106:107], s[10:11], v[170:171] neg_lo:[1,0,0] neg_hi:[1,0,0]
	v_pk_fma_f32 v[176:177], v[106:107], s[10:11], v[170:171]
	s_nop 0
	v_mov_b32_e32 v175, v177
	;; [unrolled: 7-line block ×3, first 2 shown]
	v_pk_add_f32 v[160:161], v[178:179], v[160:161]
	ds_write2_b64 v69, v[130:131], v[160:161] offset0:132 offset1:198
	v_pk_mul_f32 v[130:131], v[114:115], s[36:37]
	v_pk_mul_f32 v[114:115], v[114:115], s[34:35]
	v_pk_fma_f32 v[160:161], v[122:123], s[14:15], v[130:131] neg_lo:[1,0,0] neg_hi:[1,0,0]
	v_pk_fma_f32 v[178:179], v[24:25], s[14:15], v[130:131]
	v_pk_fma_f32 v[122:123], v[122:123], s[16:17], v[114:115] neg_lo:[1,0,0] neg_hi:[1,0,0]
	v_mov_b32_e32 v161, v179
	v_pk_add_f32 v[160:161], v[40:41], v[160:161]
	s_nop 0
	v_pk_add_f32 v[160:161], v[184:185], v[160:161]
	v_pk_mul_f32 v[184:185], v[126:127], s[26:27]
	v_pk_mul_f32 v[126:127], v[126:127], s[36:37]
	v_pk_fma_f32 v[188:189], v[54:55], s[10:11], v[184:185] neg_lo:[1,0,0] neg_hi:[1,0,0]
	v_pk_fma_f32 v[190:191], v[54:55], s[10:11], v[184:185]
	v_pk_fma_f32 v[204:205], v[54:55], s[14:15], v[126:127]
	v_mov_b32_e32 v189, v191
	v_pk_add_f32 v[160:161], v[188:189], v[160:161]
	v_pk_mul_f32 v[188:189], v[136:137], s[34:35]
	v_pk_mul_f32 v[136:137], v[136:137], s[40:41]
	v_pk_fma_f32 v[192:193], v[106:107], s[16:17], v[188:189] neg_lo:[1,0,0] neg_hi:[1,0,0]
	v_pk_fma_f32 v[194:195], v[106:107], s[16:17], v[188:189]
	v_pk_fma_f32 v[206:207], v[106:107], s[24:25], v[136:137]
	v_mov_b32_e32 v193, v195
	;; [unrolled: 7-line block ×3, first 2 shown]
	v_pk_add_f32 v[160:161], v[196:197], v[160:161]
	v_pk_fma_f32 v[196:197], v[24:25], s[16:17], v[114:115]
	v_pk_fma_f32 v[114:115], v[24:25], s[16:17], v[114:115] neg_lo:[0,0,1] neg_hi:[0,0,1]
	v_mov_b32_e32 v123, v197
	v_pk_add_f32 v[122:123], v[40:41], v[122:123]
	v_mov_b32_e32 v197, v115
	v_pk_add_f32 v[122:123], v[200:201], v[122:123]
	v_pk_fma_f32 v[200:201], v[54:55], s[14:15], v[126:127] neg_lo:[1,0,0] neg_hi:[1,0,0]
	v_pk_fma_f32 v[114:115], v[48:49], s[20:21], v[124:125] neg_lo:[0,0,1] neg_hi:[0,0,1]
	v_mov_b32_e32 v201, v205
	v_pk_add_f32 v[122:123], v[200:201], v[122:123]
	v_pk_fma_f32 v[200:201], v[106:107], s[24:25], v[136:137] neg_lo:[1,0,0] neg_hi:[1,0,0]
	v_mov_b32_e32 v203, v115
	v_mov_b32_e32 v201, v207
	v_pk_add_f32 v[122:123], v[200:201], v[122:123]
	v_pk_fma_f32 v[200:201], v[112:113], s[12:13], v[138:139] neg_lo:[1,0,0] neg_hi:[1,0,0]
	v_pk_add_f32 v[114:115], v[40:41], v[196:197]
	v_mov_b32_e32 v201, v209
	v_pk_add_f32 v[122:123], v[200:201], v[122:123]
	ds_write2_b64 v99, v[160:161], v[122:123] offset0:8 offset1:74
	v_pk_fma_f32 v[122:123], v[54:55], s[14:15], v[126:127] neg_lo:[0,0,1] neg_hi:[0,0,1]
	v_pk_fma_f32 v[124:125], v[54:55], s[10:11], v[184:185] neg_lo:[0,0,1] neg_hi:[0,0,1]
	v_mov_b32_e32 v205, v123
	v_pk_fma_f32 v[122:123], v[106:107], s[24:25], v[136:137] neg_lo:[0,0,1] neg_hi:[0,0,1]
	v_pk_add_f32 v[114:115], v[202:203], v[114:115]
	v_mov_b32_e32 v207, v123
	v_pk_fma_f32 v[122:123], v[112:113], s[12:13], v[138:139] neg_lo:[0,0,1] neg_hi:[0,0,1]
	v_mov_b32_e32 v191, v125
	v_mov_b32_e32 v209, v123
	v_pk_fma_f32 v[122:123], v[24:25], s[14:15], v[130:131] neg_lo:[0,0,1] neg_hi:[0,0,1]
	v_pk_fma_f32 v[124:125], v[106:107], s[16:17], v[188:189] neg_lo:[0,0,1] neg_hi:[0,0,1]
	v_mov_b32_e32 v179, v123
	v_pk_fma_f32 v[122:123], v[48:49], s[22:23], v[182:183] neg_lo:[0,0,1] neg_hi:[0,0,1]
	v_pk_add_f32 v[114:115], v[204:205], v[114:115]
	v_mov_b32_e32 v187, v123
	v_pk_add_f32 v[122:123], v[40:41], v[178:179]
	v_mov_b32_e32 v195, v125
	v_pk_add_f32 v[122:123], v[186:187], v[122:123]
	v_pk_fma_f32 v[124:125], v[112:113], s[24:25], v[192:193] neg_lo:[0,0,1] neg_hi:[0,0,1]
	v_pk_add_f32 v[122:123], v[190:191], v[122:123]
	v_pk_add_f32 v[114:115], v[206:207], v[114:115]
	;; [unrolled: 1-line block ×3, first 2 shown]
	v_mov_b32_e32 v199, v125
	v_pk_add_f32 v[114:115], v[208:209], v[114:115]
	v_pk_add_f32 v[122:123], v[198:199], v[122:123]
	ds_write2_b64 v99, v[114:115], v[122:123] offset0:140 offset1:206
	v_pk_fma_f32 v[122:123], v[54:55], s[24:25], v[166:167] neg_lo:[0,0,1] neg_hi:[0,0,1]
	v_pk_fma_f32 v[114:115], v[24:25], s[12:13], v[156:157] neg_lo:[0,0,1] neg_hi:[0,0,1]
	v_mov_b32_e32 v173, v123
	v_pk_fma_f32 v[122:123], v[106:107], s[10:11], v[170:171] neg_lo:[0,0,1] neg_hi:[0,0,1]
	v_mov_b32_e32 v163, v115
	v_mov_b32_e32 v177, v123
	v_pk_fma_f32 v[122:123], v[112:113], s[14:15], v[174:175] neg_lo:[0,0,1] neg_hi:[0,0,1]
	v_pk_fma_f32 v[114:115], v[48:49], s[28:29], v[164:165] neg_lo:[0,0,1] neg_hi:[0,0,1]
	v_mov_b32_e32 v181, v123
	v_pk_fma_f32 v[122:123], v[24:25], s[18:19], v[128:129] neg_lo:[0,0,1] neg_hi:[0,0,1]
	v_pk_fma_f32 v[24:25], v[24:25], s[10:11], v[46:47] neg_lo:[0,0,1] neg_hi:[0,0,1]
	v_mov_b32_e32 v135, v123
	v_mov_b32_e32 v43, v25
	;; [unrolled: 1-line block ×3, first 2 shown]
	v_pk_add_f32 v[114:115], v[40:41], v[162:163]
	v_pk_add_f32 v[122:123], v[40:41], v[134:135]
	;; [unrolled: 1-line block ×3, first 2 shown]
	v_pk_fma_f32 v[40:41], v[48:49], s[18:19], v[52:53] neg_lo:[0,0,1] neg_hi:[0,0,1]
	v_pk_fma_f32 v[124:125], v[48:49], s[14:15], v[142:143] neg_lo:[0,0,1] neg_hi:[0,0,1]
	v_mov_b32_e32 v51, v41
	v_pk_fma_f32 v[40:41], v[54:55], s[12:13], v[58:59] neg_lo:[0,0,1] neg_hi:[0,0,1]
	v_pk_add_f32 v[24:25], v[50:51], v[24:25]
	v_mov_b32_e32 v57, v41
	v_pk_fma_f32 v[40:41], v[106:107], s[14:15], v[110:111] neg_lo:[0,0,1] neg_hi:[0,0,1]
	v_mov_b32_e32 v147, v125
	v_pk_fma_f32 v[124:125], v[54:55], s[28:29], v[144:145] neg_lo:[0,0,1] neg_hi:[0,0,1]
	v_pk_add_f32 v[24:25], v[56:57], v[24:25]
	v_mov_b32_e32 v109, v41
	v_pk_fma_f32 v[40:41], v[112:113], s[16:17], v[132:133] neg_lo:[0,0,1] neg_hi:[0,0,1]
	v_pk_add_f32 v[114:115], v[168:169], v[114:115]
	v_pk_add_f32 v[122:123], v[146:147], v[122:123]
	v_mov_b32_e32 v151, v125
	v_pk_fma_f32 v[124:125], v[106:107], s[22:23], v[148:149] neg_lo:[0,0,1] neg_hi:[0,0,1]
	v_pk_add_f32 v[24:25], v[108:109], v[24:25]
	v_mov_b32_e32 v141, v41
	v_pk_add_f32 v[114:115], v[172:173], v[114:115]
	v_pk_add_f32 v[122:123], v[150:151], v[122:123]
	v_mov_b32_e32 v155, v125
	v_pk_fma_f32 v[124:125], v[112:113], s[20:21], v[152:153] neg_lo:[0,0,1] neg_hi:[0,0,1]
	v_pk_add_f32 v[24:25], v[140:141], v[24:25]
	v_pk_add_f32 v[114:115], v[176:177], v[114:115]
	;; [unrolled: 1-line block ×3, first 2 shown]
	v_mov_b32_e32 v159, v125
	ds_write_b64 v69, v[24:25] offset:5280
	v_add_co_u32_e64 v24, s[0:1], s0, v44
	v_pk_add_f32 v[114:115], v[180:181], v[114:115]
	v_pk_add_f32 v[122:123], v[158:159], v[122:123]
	v_addc_co_u32_e64 v25, s[0:1], 0, v45, s[0:1]
	ds_write2_b64 v101, v[114:115], v[122:123] offset0:16 offset1:82
	s_waitcnt lgkmcnt(0)
	s_barrier
	global_load_dwordx2 v[24:25], v[24:25], off offset:1712
	s_mov_b64 s[0:1], 0x16b0
	v_lshl_add_u64 v[40:41], v[44:45], 0, s[0:1]
	global_load_dwordx2 v[48:49], v[40:41], off offset:528
	global_load_dwordx2 v[50:51], v[40:41], off offset:1056
	global_load_dwordx2 v[52:53], v[40:41], off offset:1584
	global_load_dwordx2 v[54:55], v[40:41], off offset:2112
	global_load_dwordx2 v[56:57], v[40:41], off offset:2640
	global_load_dwordx2 v[58:59], v[40:41], off offset:3168
	global_load_dwordx2 v[106:107], v[40:41], off offset:3696
	s_movk_i32 s0, 0x2000
	v_add_co_u32_e64 v40, s[0:1], s0, v44
	s_nop 1
	v_addc_co_u32_e64 v41, s[0:1], 0, v45, s[0:1]
	global_load_dwordx2 v[108:109], v[40:41], off offset:1840
	global_load_dwordx2 v[110:111], v[40:41], off offset:2368
	;; [unrolled: 1-line block ×3, first 2 shown]
	ds_read2_b64 v[40:43], v69 offset1:66
	ds_read2_b64 v[44:47], v69 offset0:132 offset1:198
	s_waitcnt vmcnt(10) lgkmcnt(1)
	v_mul_f32_e32 v9, v41, v25
	v_fma_f32 v114, v40, v24, -v9
	v_mul_f32_e32 v115, v40, v25
	s_waitcnt vmcnt(9)
	v_mul_f32_e32 v9, v43, v49
	v_mul_f32_e32 v25, v42, v49
	v_fmac_f32_e32 v115, v41, v24
	v_fma_f32 v24, v42, v48, -v9
	v_fmac_f32_e32 v25, v43, v48
	ds_read2_b64 v[40:43], v99 offset0:8 offset1:74
	ds_write2_b64 v69, v[114:115], v[24:25] offset1:66
	s_waitcnt vmcnt(8) lgkmcnt(2)
	v_mul_f32_e32 v9, v45, v51
	v_mul_f32_e32 v25, v44, v51
	v_fma_f32 v24, v44, v50, -v9
	v_fmac_f32_e32 v25, v45, v50
	s_waitcnt vmcnt(7)
	v_mul_f32_e32 v9, v47, v53
	v_mul_f32_e32 v45, v46, v53
	v_fma_f32 v44, v46, v52, -v9
	v_fmac_f32_e32 v45, v47, v52
	ds_write2_b64 v69, v[24:25], v[44:45] offset0:132 offset1:198
	s_waitcnt vmcnt(6) lgkmcnt(2)
	v_mul_f32_e32 v9, v41, v55
	v_mul_f32_e32 v25, v40, v55
	ds_read2_b64 v[44:47], v99 offset0:140 offset1:206
	v_fma_f32 v24, v40, v54, -v9
	v_fmac_f32_e32 v25, v41, v54
	s_waitcnt vmcnt(5)
	v_mul_f32_e32 v9, v43, v57
	v_mul_f32_e32 v41, v42, v57
	v_fma_f32 v40, v42, v56, -v9
	v_fmac_f32_e32 v41, v43, v56
	ds_write2_b64 v99, v[24:25], v[40:41] offset0:8 offset1:74
	ds_read2_b64 v[40:43], v101 offset0:16 offset1:82
	s_waitcnt vmcnt(4) lgkmcnt(2)
	v_mul_f32_e32 v9, v45, v59
	v_mul_f32_e32 v25, v44, v59
	v_fma_f32 v24, v44, v58, -v9
	v_fmac_f32_e32 v25, v45, v58
	s_waitcnt vmcnt(3)
	v_mul_f32_e32 v9, v47, v107
	v_mul_f32_e32 v45, v46, v107
	v_fma_f32 v44, v46, v106, -v9
	v_fmac_f32_e32 v45, v47, v106
	ds_write2_b64 v99, v[24:25], v[44:45] offset0:140 offset1:206
	s_waitcnt vmcnt(2) lgkmcnt(1)
	v_mul_f32_e32 v9, v41, v109
	v_mul_f32_e32 v25, v40, v109
	v_fma_f32 v24, v40, v108, -v9
	v_fmac_f32_e32 v25, v41, v108
	ds_read_b64 v[40:41], v69 offset:5280
	s_waitcnt vmcnt(1)
	v_mul_f32_e32 v9, v43, v111
	v_mul_f32_e32 v45, v42, v111
	v_fma_f32 v44, v42, v110, -v9
	v_fmac_f32_e32 v45, v43, v110
	ds_write2_b64 v101, v[24:25], v[44:45] offset0:16 offset1:82
	s_waitcnt vmcnt(0) lgkmcnt(1)
	v_mul_f32_e32 v9, v41, v113
	v_mul_f32_e32 v25, v40, v113
	v_fma_f32 v24, v40, v112, -v9
	v_fmac_f32_e32 v25, v41, v112
	ds_write_b64 v69, v[24:25] offset:5280
	s_waitcnt lgkmcnt(0)
	s_barrier
	ds_read2_b64 v[48:51], v69 offset1:66
	ds_read_b64 v[106:107], v69 offset:5280
	ds_read2_b64 v[40:43], v69 offset0:132 offset1:198
	ds_read2_b64 v[44:47], v101 offset0:16 offset1:82
	ds_read2_b64 v[52:55], v99 offset0:8 offset1:74
	ds_read2_b64 v[56:59], v99 offset0:140 offset1:206
	s_waitcnt lgkmcnt(4)
	v_pk_add_f32 v[108:109], v[106:107], v[50:51]
	v_pk_add_f32 v[24:25], v[50:51], v[106:107] neg_lo:[0,1] neg_hi:[0,1]
	v_pk_add_f32 v[50:51], v[48:49], v[50:51]
	s_waitcnt lgkmcnt(2)
	v_pk_add_f32 v[110:111], v[46:47], v[40:41]
	v_pk_add_f32 v[112:113], v[40:41], v[46:47] neg_lo:[0,1] neg_hi:[0,1]
	v_pk_add_f32 v[40:41], v[50:51], v[40:41]
	v_mov_b32_e32 v51, v109
	v_pk_add_f32 v[40:41], v[40:41], v[42:43]
	v_mov_b32_e32 v109, v24
	s_waitcnt lgkmcnt(1)
	v_pk_add_f32 v[40:41], v[40:41], v[52:53]
	v_pk_add_f32 v[114:115], v[44:45], v[42:43]
	;; [unrolled: 1-line block ×3, first 2 shown]
	v_pk_add_f32 v[122:123], v[42:43], v[44:45] neg_lo:[0,1] neg_hi:[0,1]
	s_waitcnt lgkmcnt(0)
	v_pk_add_f32 v[40:41], v[40:41], v[56:57]
	v_pk_add_f32 v[124:125], v[58:59], v[52:53]
	v_pk_add_f32 v[126:127], v[52:53], v[58:59] neg_lo:[0,1] neg_hi:[0,1]
	v_pk_add_f32 v[40:41], v[40:41], v[58:59]
	v_mov_b32_e32 v50, v25
	v_mov_b32_e32 v52, v113
	v_mov_b32_e32 v53, v111
	v_mov_b32_e32 v111, v112
	v_pk_mul_f32 v[112:113], v[108:109], s[26:27]
	v_pk_add_f32 v[128:129], v[56:57], v[54:55]
	v_pk_add_f32 v[130:131], v[54:55], v[56:57] neg_lo:[0,1] neg_hi:[0,1]
	v_pk_add_f32 v[40:41], v[40:41], v[44:45]
	v_mov_b32_e32 v54, v123
	v_mov_b32_e32 v55, v115
	;; [unrolled: 1-line block ×6, first 2 shown]
	v_pk_fma_f32 v[24:25], v[50:51], s[10:11], v[112:113] neg_lo:[1,0,0] neg_hi:[1,0,0]
	v_pk_fma_f32 v[122:123], v[50:51], s[10:11], v[112:113]
	v_pk_mul_f32 v[126:127], v[110:111], s[42:43]
	v_pk_add_f32 v[132:133], v[40:41], v[46:47]
	v_mov_b32_e32 v25, v123
	v_pk_fma_f32 v[40:41], v[52:53], s[18:19], v[126:127] neg_lo:[1,0,0] neg_hi:[1,0,0]
	v_pk_fma_f32 v[134:135], v[52:53], s[18:19], v[126:127]
	v_pk_mul_f32 v[136:137], v[114:115], s[30:31]
	v_mov_b32_e32 v41, v135
	v_pk_fma_f32 v[42:43], v[54:55], s[12:13], v[136:137] neg_lo:[1,0,0] neg_hi:[1,0,0]
	v_pk_fma_f32 v[138:139], v[54:55], s[12:13], v[136:137]
	v_pk_mul_f32 v[140:141], v[124:125], s[36:37]
	v_pk_add_f32 v[24:25], v[48:49], v[24:25]
	v_pk_mul_f32 v[146:147], v[108:109], s[42:43]
	v_mov_b32_e32 v43, v139
	v_pk_fma_f32 v[44:45], v[56:57], s[14:15], v[140:141] neg_lo:[1,0,0] neg_hi:[1,0,0]
	v_pk_fma_f32 v[142:143], v[56:57], s[14:15], v[140:141]
	v_pk_add_f32 v[24:25], v[40:41], v[24:25]
	v_pk_fma_f32 v[40:41], v[50:51], s[18:19], v[146:147] neg_lo:[1,0,0] neg_hi:[1,0,0]
	v_pk_fma_f32 v[148:149], v[50:51], s[18:19], v[146:147]
	v_pk_mul_f32 v[150:151], v[110:111], s[36:37]
	v_mov_b32_e32 v45, v143
	v_pk_add_f32 v[24:25], v[42:43], v[24:25]
	v_mov_b32_e32 v41, v149
	v_pk_fma_f32 v[42:43], v[52:53], s[14:15], v[150:151] neg_lo:[1,0,0] neg_hi:[1,0,0]
	v_pk_fma_f32 v[152:153], v[52:53], s[14:15], v[150:151]
	v_pk_mul_f32 v[154:155], v[114:115], s[46:47]
	v_pk_add_f32 v[24:25], v[44:45], v[24:25]
	v_mov_b32_e32 v43, v153
	v_pk_fma_f32 v[44:45], v[54:55], s[28:29], v[154:155] neg_lo:[1,0,0] neg_hi:[1,0,0]
	v_pk_fma_f32 v[156:157], v[54:55], s[28:29], v[154:155]
	v_pk_add_f32 v[40:41], v[48:49], v[40:41]
	v_pk_mul_f32 v[158:159], v[124:125], s[38:39]
	v_mov_b32_e32 v45, v157
	v_pk_add_f32 v[40:41], v[42:43], v[40:41]
	v_pk_fma_f32 v[42:43], v[56:57], s[22:23], v[158:159] neg_lo:[1,0,0] neg_hi:[1,0,0]
	v_pk_fma_f32 v[160:161], v[56:57], s[22:23], v[158:159]
	v_pk_add_f32 v[40:41], v[44:45], v[40:41]
	v_mov_b32_e32 v43, v161
	v_pk_mul_f32 v[162:163], v[108:109], s[30:31]
	v_pk_add_f32 v[40:41], v[42:43], v[40:41]
	v_pk_fma_f32 v[42:43], v[50:51], s[12:13], v[162:163] neg_lo:[1,0,0] neg_hi:[1,0,0]
	v_pk_fma_f32 v[164:165], v[50:51], s[12:13], v[162:163]
	v_pk_mul_f32 v[166:167], v[110:111], s[46:47]
	v_mov_b32_e32 v43, v165
	v_pk_fma_f32 v[44:45], v[52:53], s[28:29], v[166:167] neg_lo:[1,0,0] neg_hi:[1,0,0]
	v_pk_fma_f32 v[168:169], v[52:53], s[28:29], v[166:167]
	v_pk_add_f32 v[42:43], v[48:49], v[42:43]
	v_mov_b32_e32 v45, v169
	v_pk_mul_f32 v[170:171], v[114:115], s[40:41]
	v_pk_fma_f32 v[112:113], v[50:51], s[10:11], v[112:113] neg_lo:[0,0,1] neg_hi:[0,0,1]
	v_pk_add_f32 v[42:43], v[44:45], v[42:43]
	v_pk_fma_f32 v[44:45], v[54:55], s[24:25], v[170:171] neg_lo:[1,0,0] neg_hi:[1,0,0]
	v_pk_fma_f32 v[172:173], v[54:55], s[24:25], v[170:171]
	v_mov_b32_e32 v123, v113
	v_pk_fma_f32 v[112:113], v[52:53], s[18:19], v[126:127] neg_lo:[0,0,1] neg_hi:[0,0,1]
	v_mov_b32_e32 v59, v129
	v_mov_b32_e32 v129, v130
	;; [unrolled: 1-line block ×3, first 2 shown]
	v_pk_mul_f32 v[174:175], v[124:125], s[26:27]
	v_mov_b32_e32 v135, v113
	v_pk_fma_f32 v[112:113], v[54:55], s[12:13], v[136:137] neg_lo:[0,0,1] neg_hi:[0,0,1]
	v_mov_b32_e32 v58, v131
	v_pk_mul_f32 v[130:131], v[128:129], s[34:35]
	v_pk_add_f32 v[42:43], v[44:45], v[42:43]
	v_pk_fma_f32 v[44:45], v[56:57], s[10:11], v[174:175] neg_lo:[1,0,0] neg_hi:[1,0,0]
	v_pk_fma_f32 v[176:177], v[56:57], s[10:11], v[174:175]
	v_mov_b32_e32 v139, v113
	v_pk_fma_f32 v[112:113], v[56:57], s[14:15], v[140:141] neg_lo:[0,0,1] neg_hi:[0,0,1]
	v_pk_fma_f32 v[46:47], v[58:59], s[16:17], v[130:131] neg_lo:[1,0,0] neg_hi:[1,0,0]
	v_pk_fma_f32 v[144:145], v[58:59], s[16:17], v[130:131]
	v_mov_b32_e32 v45, v177
	v_pk_mul_f32 v[178:179], v[128:129], s[44:45]
	v_mov_b32_e32 v143, v113
	v_pk_fma_f32 v[112:113], v[58:59], s[16:17], v[130:131] neg_lo:[0,0,1] neg_hi:[0,0,1]
	v_mov_b32_e32 v47, v145
	v_pk_add_f32 v[44:45], v[44:45], v[42:43]
	v_pk_fma_f32 v[42:43], v[58:59], s[20:21], v[178:179] neg_lo:[1,0,0] neg_hi:[1,0,0]
	v_pk_fma_f32 v[180:181], v[58:59], s[20:21], v[178:179]
	v_mov_b32_e32 v145, v113
	v_pk_add_f32 v[112:113], v[48:49], v[122:123]
	v_mov_b32_e32 v43, v181
	v_pk_mul_f32 v[182:183], v[128:129], s[36:37]
	v_pk_add_f32 v[112:113], v[134:135], v[112:113]
	v_pk_add_f32 v[42:43], v[42:43], v[40:41]
	v_pk_fma_f32 v[40:41], v[58:59], s[14:15], v[182:183] neg_lo:[1,0,0] neg_hi:[1,0,0]
	v_pk_fma_f32 v[184:185], v[58:59], s[14:15], v[182:183]
	v_pk_add_f32 v[112:113], v[138:139], v[112:113]
	v_mov_b32_e32 v41, v185
	v_pk_mul_f32 v[186:187], v[108:109], s[34:35]
	v_pk_add_f32 v[112:113], v[142:143], v[112:113]
	v_pk_add_f32 v[40:41], v[40:41], v[44:45]
	v_pk_fma_f32 v[44:45], v[50:51], s[16:17], v[186:187] neg_lo:[1,0,0] neg_hi:[1,0,0]
	v_pk_fma_f32 v[188:189], v[50:51], s[16:17], v[186:187]
	v_pk_mul_f32 v[190:191], v[110:111], s[44:45]
	v_pk_add_f32 v[106:107], v[132:133], v[106:107]
	v_pk_add_f32 v[112:113], v[144:145], v[112:113]
	;; [unrolled: 1-line block ×3, first 2 shown]
	v_mov_b32_e32 v45, v189
	v_pk_fma_f32 v[46:47], v[52:53], s[20:21], v[190:191] neg_lo:[1,0,0] neg_hi:[1,0,0]
	v_pk_fma_f32 v[192:193], v[52:53], s[20:21], v[190:191]
	s_barrier
	ds_write2_b64 v97, v[106:107], v[112:113] offset1:1
	v_pk_fma_f32 v[106:107], v[50:51], s[18:19], v[146:147] neg_lo:[0,0,1] neg_hi:[0,0,1]
	v_pk_fma_f32 v[112:113], v[50:51], s[12:13], v[162:163] neg_lo:[0,0,1] neg_hi:[0,0,1]
	v_pk_add_f32 v[44:45], v[48:49], v[44:45]
	v_mov_b32_e32 v47, v193
	v_pk_mul_f32 v[194:195], v[114:115], s[36:37]
	v_mov_b32_e32 v149, v107
	v_pk_fma_f32 v[106:107], v[52:53], s[14:15], v[150:151] neg_lo:[0,0,1] neg_hi:[0,0,1]
	v_mov_b32_e32 v165, v113
	v_pk_fma_f32 v[112:113], v[52:53], s[28:29], v[166:167] neg_lo:[0,0,1] neg_hi:[0,0,1]
	v_pk_add_f32 v[44:45], v[46:47], v[44:45]
	v_pk_fma_f32 v[46:47], v[54:55], s[14:15], v[194:195] neg_lo:[1,0,0] neg_hi:[1,0,0]
	v_pk_fma_f32 v[196:197], v[54:55], s[14:15], v[194:195]
	v_mov_b32_e32 v153, v107
	v_pk_fma_f32 v[106:107], v[54:55], s[28:29], v[154:155] neg_lo:[0,0,1] neg_hi:[0,0,1]
	v_mov_b32_e32 v169, v113
	v_pk_fma_f32 v[112:113], v[54:55], s[24:25], v[170:171] neg_lo:[0,0,1] neg_hi:[0,0,1]
	v_mov_b32_e32 v47, v197
	v_pk_mul_f32 v[198:199], v[124:125], s[40:41]
	v_mov_b32_e32 v157, v107
	v_pk_fma_f32 v[106:107], v[56:57], s[22:23], v[158:159] neg_lo:[0,0,1] neg_hi:[0,0,1]
	v_mov_b32_e32 v173, v113
	v_pk_fma_f32 v[112:113], v[56:57], s[10:11], v[174:175] neg_lo:[0,0,1] neg_hi:[0,0,1]
	v_pk_add_f32 v[44:45], v[46:47], v[44:45]
	v_pk_fma_f32 v[46:47], v[56:57], s[24:25], v[198:199] neg_lo:[1,0,0] neg_hi:[1,0,0]
	v_pk_fma_f32 v[200:201], v[56:57], s[24:25], v[198:199]
	v_mov_b32_e32 v161, v107
	v_pk_fma_f32 v[106:107], v[58:59], s[20:21], v[178:179] neg_lo:[0,0,1] neg_hi:[0,0,1]
	v_mov_b32_e32 v177, v113
	v_pk_fma_f32 v[112:113], v[58:59], s[14:15], v[182:183] neg_lo:[0,0,1] neg_hi:[0,0,1]
	v_mov_b32_e32 v47, v201
	v_pk_mul_f32 v[108:109], v[108:109], s[36:37]
	v_mov_b32_e32 v181, v107
	v_pk_add_f32 v[106:107], v[48:49], v[148:149]
	v_mov_b32_e32 v185, v113
	v_pk_add_f32 v[112:113], v[48:49], v[164:165]
	v_pk_add_f32 v[44:45], v[46:47], v[44:45]
	v_pk_fma_f32 v[46:47], v[50:51], s[14:15], v[108:109] neg_lo:[1,0,0] neg_hi:[1,0,0]
	v_pk_fma_f32 v[202:203], v[50:51], s[14:15], v[108:109]
	v_pk_mul_f32 v[110:111], v[110:111], s[38:39]
	v_pk_add_f32 v[106:107], v[152:153], v[106:107]
	v_pk_add_f32 v[112:113], v[168:169], v[112:113]
	v_mov_b32_e32 v47, v203
	v_pk_fma_f32 v[204:205], v[52:53], s[22:23], v[110:111] neg_lo:[1,0,0] neg_hi:[1,0,0]
	v_pk_fma_f32 v[206:207], v[52:53], s[22:23], v[110:111]
	v_pk_add_f32 v[106:107], v[156:157], v[106:107]
	v_pk_add_f32 v[112:113], v[172:173], v[112:113]
	v_mov_b32_e32 v205, v207
	v_pk_add_f32 v[46:47], v[48:49], v[46:47]
	v_pk_add_f32 v[106:107], v[160:161], v[106:107]
	;; [unrolled: 1-line block ×4, first 2 shown]
	v_pk_mul_f32 v[204:205], v[114:115], s[26:27]
	v_pk_add_f32 v[106:107], v[180:181], v[106:107]
	v_pk_add_f32 v[112:113], v[184:185], v[112:113]
	v_pk_fma_f32 v[114:115], v[54:55], s[10:11], v[204:205] neg_lo:[1,0,0] neg_hi:[1,0,0]
	v_pk_fma_f32 v[208:209], v[54:55], s[10:11], v[204:205]
	ds_write2_b64 v97, v[106:107], v[112:113] offset0:2 offset1:3
	v_pk_fma_f32 v[106:107], v[50:51], s[14:15], v[108:109] neg_lo:[0,0,1] neg_hi:[0,0,1]
	v_mov_b32_e32 v115, v209
	v_pk_mul_f32 v[124:125], v[124:125], s[34:35]
	v_mov_b32_e32 v203, v107
	v_pk_fma_f32 v[106:107], v[52:53], s[22:23], v[110:111] neg_lo:[0,0,1] neg_hi:[0,0,1]
	v_pk_add_f32 v[46:47], v[114:115], v[46:47]
	v_pk_fma_f32 v[114:115], v[56:57], s[16:17], v[124:125] neg_lo:[1,0,0] neg_hi:[1,0,0]
	v_pk_fma_f32 v[210:211], v[56:57], s[16:17], v[124:125]
	v_mov_b32_e32 v207, v107
	v_pk_fma_f32 v[106:107], v[54:55], s[10:11], v[204:205] neg_lo:[0,0,1] neg_hi:[0,0,1]
	v_mov_b32_e32 v115, v211
	v_pk_mul_f32 v[212:213], v[128:129], s[40:41]
	v_mov_b32_e32 v209, v107
	v_pk_fma_f32 v[106:107], v[56:57], s[16:17], v[124:125] neg_lo:[0,0,1] neg_hi:[0,0,1]
	v_pk_fma_f32 v[50:51], v[50:51], s[16:17], v[186:187] neg_lo:[0,0,1] neg_hi:[0,0,1]
	v_pk_add_f32 v[46:47], v[114:115], v[46:47]
	v_pk_fma_f32 v[114:115], v[58:59], s[24:25], v[212:213] neg_lo:[1,0,0] neg_hi:[1,0,0]
	v_pk_fma_f32 v[214:215], v[58:59], s[24:25], v[212:213]
	v_mov_b32_e32 v211, v107
	v_pk_fma_f32 v[106:107], v[58:59], s[24:25], v[212:213] neg_lo:[0,0,1] neg_hi:[0,0,1]
	v_mov_b32_e32 v189, v51
	v_pk_fma_f32 v[50:51], v[52:53], s[20:21], v[190:191] neg_lo:[0,0,1] neg_hi:[0,0,1]
	v_mov_b32_e32 v115, v215
	v_mov_b32_e32 v215, v107
	v_pk_add_f32 v[106:107], v[48:49], v[202:203]
	v_pk_add_f32 v[48:49], v[48:49], v[188:189]
	v_mov_b32_e32 v193, v51
	v_pk_fma_f32 v[50:51], v[54:55], s[14:15], v[194:195] neg_lo:[0,0,1] neg_hi:[0,0,1]
	v_pk_mul_f32 v[128:129], v[128:129], s[30:31]
	v_pk_add_f32 v[106:107], v[206:207], v[106:107]
	v_pk_add_f32 v[48:49], v[192:193], v[48:49]
	v_mov_b32_e32 v197, v51
	v_pk_fma_f32 v[50:51], v[56:57], s[24:25], v[198:199] neg_lo:[0,0,1] neg_hi:[0,0,1]
	v_pk_add_f32 v[46:47], v[114:115], v[46:47]
	v_pk_fma_f32 v[114:115], v[58:59], s[12:13], v[128:129] neg_lo:[1,0,0] neg_hi:[1,0,0]
	v_pk_fma_f32 v[216:217], v[58:59], s[12:13], v[128:129]
	v_pk_add_f32 v[106:107], v[208:209], v[106:107]
	v_pk_add_f32 v[48:49], v[196:197], v[48:49]
	v_mov_b32_e32 v201, v51
	v_pk_fma_f32 v[50:51], v[58:59], s[12:13], v[128:129] neg_lo:[0,0,1] neg_hi:[0,0,1]
	v_mov_b32_e32 v115, v217
	v_pk_add_f32 v[106:107], v[210:211], v[106:107]
	v_pk_add_f32 v[48:49], v[200:201], v[48:49]
	v_mov_b32_e32 v217, v51
	v_pk_add_f32 v[106:107], v[214:215], v[106:107]
	v_pk_add_f32 v[48:49], v[216:217], v[48:49]
	;; [unrolled: 1-line block ×3, first 2 shown]
	ds_write2_b64 v97, v[106:107], v[48:49] offset0:4 offset1:5
	ds_write2_b64 v97, v[44:45], v[46:47] offset0:6 offset1:7
	;; [unrolled: 1-line block ×3, first 2 shown]
	ds_write_b64 v97, v[24:25] offset:80
	s_waitcnt lgkmcnt(0)
	s_barrier
	ds_read2_b64 v[56:59], v19 offset0:114 offset1:235
	v_add_u32_e32 v19, 0xc00, v69
	ds_read2_b64 v[48:51], v69 offset1:121
	ds_read2_b64 v[52:55], v19 offset0:100 offset1:221
	v_mov_b32_e32 v9, v8
	v_mov_b32_e32 v114, v86
	;; [unrolled: 1-line block ×8, first 2 shown]
	s_and_saveexec_b64 s[0:1], vcc
	s_cbranch_execz .LBB0_7
; %bb.6:
	ds_read2_b64 v[44:47], v69 offset0:66 offset1:187
	ds_read2_b64 v[40:43], v99 offset0:52 offset1:173
	;; [unrolled: 1-line block ×3, first 2 shown]
.LBB0_7:
	s_or_b64 exec, exec, s[0:1]
	s_waitcnt lgkmcnt(1)
	v_pk_mul_f32 v[94:95], v[94:95], v[50:51]
	v_pk_mul_f32 v[92:93], v[92:93], v[56:57]
	;; [unrolled: 1-line block ×3, first 2 shown]
	v_pk_fma_f32 v[122:123], v[12:13], v[50:51], v[94:95] op_sel:[0,0,1] op_sel_hi:[1,1,0]
	v_pk_fma_f32 v[12:13], v[12:13], v[50:51], v[94:95] op_sel:[0,0,1] op_sel_hi:[1,1,0] neg_lo:[0,0,1] neg_hi:[0,0,1]
	v_pk_fma_f32 v[50:51], v[14:15], v[56:57], v[92:93] op_sel:[0,0,1] op_sel_hi:[1,1,0]
	v_pk_fma_f32 v[14:15], v[14:15], v[56:57], v[92:93] op_sel:[0,0,1] op_sel_hi:[1,1,0] neg_lo:[0,0,1] neg_hi:[0,0,1]
	s_waitcnt lgkmcnt(0)
	v_pk_mul_f32 v[88:89], v[88:89], v[52:53]
	v_mov_b32_e32 v51, v15
	v_pk_fma_f32 v[14:15], v[8:9], v[58:59], v[90:91] op_sel:[0,0,1] op_sel_hi:[1,1,0]
	v_pk_fma_f32 v[8:9], v[8:9], v[58:59], v[90:91] op_sel:[0,0,1] op_sel_hi:[1,1,0] neg_lo:[0,0,1] neg_hi:[0,0,1]
	v_pk_mul_f32 v[86:87], v[86:87], v[54:55]
	v_mov_b32_e32 v15, v9
	v_pk_fma_f32 v[8:9], v[10:11], v[52:53], v[88:89] op_sel:[0,0,1] op_sel_hi:[1,1,0]
	v_pk_fma_f32 v[10:11], v[10:11], v[52:53], v[88:89] op_sel:[0,0,1] op_sel_hi:[1,1,0] neg_lo:[0,0,1] neg_hi:[0,0,1]
	v_pk_fma_f32 v[52:53], v[114:115], v[54:55], v[86:87] op_sel:[0,0,1] op_sel_hi:[1,1,0] neg_lo:[0,0,1] neg_hi:[0,0,1]
	v_mov_b32_e32 v9, v11
	v_pk_fma_f32 v[10:11], v[114:115], v[54:55], v[86:87] op_sel:[0,0,1] op_sel_hi:[1,1,0]
	s_mov_b32 s8, 0.5
	v_mov_b32_e32 v11, v53
	v_mov_b32_e32 v123, v13
	v_pk_add_f32 v[52:53], v[48:49], v[50:51]
	v_pk_add_f32 v[54:55], v[14:15], v[10:11]
	s_mov_b32 s9, 0x3f5db3d7
	v_pk_add_f32 v[52:53], v[52:53], v[8:9]
	v_mov_b32_e32 v12, v122
	v_pk_add_f32 v[56:57], v[14:15], v[10:11] neg_lo:[0,1] neg_hi:[0,1]
	v_pk_add_f32 v[14:15], v[122:123], v[14:15]
	v_fmac_f32_e32 v13, -0.5, v55
	v_pk_add_f32 v[58:59], v[50:51], v[8:9]
	v_pk_add_f32 v[8:9], v[50:51], v[8:9] neg_lo:[0,1] neg_hi:[0,1]
	s_mov_b32 s10, s9
	v_fmac_f32_e32 v12, -0.5, v54
	v_pk_add_f32 v[10:11], v[14:15], v[10:11]
	v_fmamk_f32 v14, v56, 0x3f5db3d7, v13
	v_pk_mul_f32 v[8:9], v[8:9], s[10:11] op_sel_hi:[1,0]
	s_mov_b32 s11, s8
	v_fmamk_f32 v54, v57, 0xbf5db3d7, v12
	v_pk_fma_f32 v[48:49], -0.5, v[58:59], v[48:49] op_sel_hi:[0,1,1]
	v_pk_mul_f32 v[14:15], v[14:15], s[10:11] op_sel_hi:[0,1]
	v_pk_add_f32 v[50:51], v[48:49], v[8:9] op_sel:[0,1] op_sel_hi:[1,0] neg_lo:[0,1] neg_hi:[0,1]
	v_pk_add_f32 v[8:9], v[48:49], v[8:9] op_sel:[0,1] op_sel_hi:[1,0]
	v_pk_fma_f32 v[58:59], v[54:55], s[8:9], v[14:15] neg_lo:[0,0,1] neg_hi:[0,0,1]
	v_pk_fma_f32 v[14:15], v[54:55], s[8:9], v[14:15] op_sel_hi:[0,1,1]
	v_mov_b32_e32 v48, v50
	v_mov_b32_e32 v49, v9
	;; [unrolled: 1-line block ×3, first 2 shown]
	v_fmac_f32_e32 v12, 0x3f5db3d7, v57
	v_fmac_f32_e32 v13, 0xbf5db3d7, v56
	v_pk_add_f32 v[56:57], v[52:53], v[10:11]
	v_pk_add_f32 v[14:15], v[48:49], v[58:59]
	s_barrier
	ds_write2_b64 v120, v[56:57], v[14:15] offset1:11
	v_mov_b32_e32 v14, v13
	s_mov_b32 s0, -0.5
	s_mov_b32 s1, s9
	v_pk_mul_f32 v[14:15], v[14:15], s[10:11] op_sel_hi:[0,1]
	v_pk_fma_f32 v[12:13], v[12:13], s[0:1], v[14:15] op_sel_hi:[0,1,1] neg_lo:[0,0,1] neg_hi:[0,0,1]
	v_mov_b32_e32 v9, v51
	v_pk_add_f32 v[14:15], v[8:9], v[12:13]
	v_pk_add_f32 v[10:11], v[52:53], v[10:11] neg_lo:[0,1] neg_hi:[0,1]
	v_mov_b32_e32 v23, v22
	v_mov_b32_e32 v105, v104
	v_mov_b32_e32 v37, v36
	v_mov_b32_e32 v113, v112
	v_mov_b32_e32 v39, v38
	v_mov_b32_e32 v103, v102
	v_mov_b32_e32 v29, v28
	v_mov_b32_e32 v111, v110
	v_mov_b32_e32 v31, v30
	v_mov_b32_e32 v101, v100
	v_mov_b32_e32 v17, v16
	v_mov_b32_e32 v109, v108
	v_mov_b32_e32 v19, v18
	v_mov_b32_e32 v99, v98
	v_mov_b32_e32 v33, v32
	v_mov_b32_e32 v107, v106
	v_mov_b32_e32 v35, v34
	v_mov_b32_e32 v97, v96
	ds_write2_b64 v120, v[14:15], v[10:11] offset0:22 offset1:33
	v_pk_add_f32 v[10:11], v[48:49], v[58:59] neg_lo:[0,1] neg_hi:[0,1]
	v_pk_add_f32 v[8:9], v[8:9], v[12:13] neg_lo:[0,1] neg_hi:[0,1]
	ds_write2_b64 v120, v[10:11], v[8:9] offset0:44 offset1:55
	s_and_saveexec_b64 s[12:13], vcc
	s_cbranch_execz .LBB0_9
; %bb.8:
	v_mul_u32_u24_e32 v50, 0x42, v118
	v_pk_mul_f32 v[8:9], v[2:3], v[40:41] op_sel:[0,1]
	v_add_u32_e32 v50, v50, v119
	v_pk_mul_f32 v[10:11], v[6:7], v[24:25] op_sel:[0,1]
	v_lshl_add_u32 v52, v50, 3, v117
	v_pk_fma_f32 v[50:51], v[2:3], v[40:41], v[8:9] op_sel:[0,0,1] op_sel_hi:[1,1,0]
	v_pk_fma_f32 v[2:3], v[2:3], v[40:41], v[8:9] op_sel:[0,0,1] op_sel_hi:[1,0,0] neg_lo:[1,0,0] neg_hi:[1,0,0]
	v_pk_mul_f32 v[14:15], v[4:5], v[42:43] op_sel:[0,1]
	v_mov_b32_e32 v51, v3
	v_pk_fma_f32 v[2:3], v[6:7], v[24:25], v[10:11] op_sel:[0,0,1] op_sel_hi:[1,1,0]
	v_pk_fma_f32 v[6:7], v[6:7], v[24:25], v[10:11] op_sel:[0,0,1] op_sel_hi:[1,0,0] neg_lo:[1,0,0] neg_hi:[1,0,0]
	v_pk_mul_f32 v[48:49], v[84:85], v[26:27] op_sel:[0,1]
	v_mov_b32_e32 v3, v7
	;; [unrolled: 4-line block ×3, first 2 shown]
	v_pk_fma_f32 v[4:5], v[84:85], v[26:27], v[48:49] op_sel:[0,0,1] op_sel_hi:[1,1,0]
	v_pk_fma_f32 v[8:9], v[84:85], v[26:27], v[48:49] op_sel:[0,0,1] op_sel_hi:[1,0,0] neg_lo:[1,0,0] neg_hi:[1,0,0]
	v_pk_fma_f32 v[10:11], v[0:1], v[46:47], v[12:13] op_sel:[0,0,1] op_sel_hi:[1,0,0]
	v_mov_b32_e32 v5, v9
	v_pk_fma_f32 v[0:1], v[0:1], v[46:47], v[12:13] op_sel:[0,0,1] op_sel_hi:[1,0,0] neg_lo:[1,0,0] neg_hi:[1,0,0]
	v_pk_add_f32 v[8:9], v[6:7], v[4:5]
	v_mov_b32_e32 v0, v10
	v_mov_b32_e32 v11, v1
	v_fmac_f32_e32 v0, -0.5, v8
	v_pk_add_f32 v[12:13], v[6:7], v[4:5] neg_lo:[0,1] neg_hi:[0,1]
	v_fmac_f32_e32 v1, -0.5, v9
	v_fmamk_f32 v8, v13, 0x3f5db3d7, v0
	v_fmamk_f32 v14, v12, 0xbf5db3d7, v1
	v_fmac_f32_e32 v0, 0xbf5db3d7, v13
	v_fmac_f32_e32 v1, 0x3f5db3d7, v12
	v_pk_add_f32 v[12:13], v[44:45], v[50:51]
	v_pk_add_f32 v[6:7], v[10:11], v[6:7]
	;; [unrolled: 1-line block ×4, first 2 shown]
	v_pk_add_f32 v[2:3], v[50:51], v[2:3] neg_lo:[0,1] neg_hi:[0,1]
	s_mov_b32 s14, s9
	v_pk_fma_f32 v[10:11], -0.5, v[10:11], v[44:45] op_sel_hi:[0,1,1]
	v_pk_mul_f32 v[2:3], v[2:3], s[14:15] op_sel_hi:[1,0]
	v_pk_add_f32 v[4:5], v[6:7], v[4:5]
	v_pk_add_f32 v[24:25], v[10:11], v[2:3] op_sel:[0,1] op_sel_hi:[1,0] neg_lo:[0,1] neg_hi:[0,1]
	v_pk_add_f32 v[2:3], v[10:11], v[2:3] op_sel:[0,1] op_sel_hi:[1,0]
	v_mov_b32_e32 v10, v24
	v_mov_b32_e32 v24, v1
	v_pk_mul_f32 v[26:27], v[24:25], s[10:11] op_sel_hi:[0,1]
	v_pk_fma_f32 v[40:41], v[0:1], s[8:9], v[26:27] neg_lo:[0,0,1] neg_hi:[0,0,1]
	v_pk_fma_f32 v[0:1], v[0:1], s[8:9], v[26:27] op_sel_hi:[0,1,1]
	v_mov_b32_e32 v11, v3
	v_mov_b32_e32 v41, v1
	v_pk_add_f32 v[6:7], v[12:13], v[4:5]
	v_pk_add_f32 v[0:1], v[10:11], v[40:41]
	ds_write2_b64 v52, v[6:7], v[0:1] offset1:11
	v_pk_mul_f32 v[0:1], v[14:15], s[10:11] op_sel_hi:[0,1]
	v_pk_fma_f32 v[0:1], v[8:9], s[0:1], v[0:1] op_sel_hi:[0,1,1] neg_lo:[0,0,1] neg_hi:[0,0,1]
	v_mov_b32_e32 v3, v25
	v_pk_add_f32 v[6:7], v[2:3], v[0:1]
	v_pk_add_f32 v[4:5], v[12:13], v[4:5] neg_lo:[0,1] neg_hi:[0,1]
	ds_write2_b64 v52, v[6:7], v[4:5] offset0:22 offset1:33
	v_pk_add_f32 v[4:5], v[10:11], v[40:41] neg_lo:[0,1] neg_hi:[0,1]
	v_pk_add_f32 v[0:1], v[2:3], v[0:1] neg_lo:[0,1] neg_hi:[0,1]
	ds_write2_b64 v52, v[4:5], v[0:1] offset0:44 offset1:55
.LBB0_9:
	s_or_b64 exec, exec, s[12:13]
	s_waitcnt lgkmcnt(0)
	s_barrier
	ds_read2_b64 v[10:13], v69 offset0:132 offset1:198
	ds_read2_b64 v[0:3], v69 offset1:66
	v_add_u32_e32 v9, 0x800, v69
	ds_read2_b64 v[24:27], v9 offset0:8 offset1:74
	ds_read2_b64 v[40:43], v9 offset0:140 offset1:206
	v_add_u32_e32 v8, 0x1000, v69
	s_waitcnt lgkmcnt(3)
	v_pk_mul_f32 v[48:49], v[104:105], v[10:11]
	ds_read2_b64 v[44:47], v8 offset0:16 offset1:82
	ds_read_b64 v[14:15], v69 offset:5280
	v_pk_fma_f32 v[50:51], v[22:23], v[10:11], v[48:49] op_sel:[0,0,1] op_sel_hi:[1,1,0]
	v_pk_fma_f32 v[10:11], v[22:23], v[10:11], v[48:49] op_sel:[0,0,1] op_sel_hi:[1,1,0] neg_lo:[0,0,1] neg_hi:[0,0,1]
	v_mad_u64_u32 v[6:7], s[0:1], s6, v68, 0
	v_mov_b32_e32 v51, v11
	v_pk_mul_f32 v[10:11], v[112:113], v[12:13]
	s_mov_b32 s10, 0xbf0a6770
	v_pk_fma_f32 v[22:23], v[36:37], v[12:13], v[10:11] op_sel:[0,0,1] op_sel_hi:[1,1,0]
	v_pk_fma_f32 v[10:11], v[36:37], v[12:13], v[10:11] op_sel:[0,0,1] op_sel_hi:[1,1,0] neg_lo:[0,0,1] neg_hi:[0,0,1]
	s_mov_b32 s0, 0x3f575c64
	v_mov_b32_e32 v23, v11
	s_waitcnt lgkmcnt(3)
	v_pk_mul_f32 v[10:11], v[102:103], v[24:25]
	s_mov_b32 s20, 0xbf68dda4
	v_pk_fma_f32 v[12:13], v[38:39], v[24:25], v[10:11] op_sel:[0,0,1] op_sel_hi:[1,1,0]
	v_pk_fma_f32 v[10:11], v[38:39], v[24:25], v[10:11] op_sel:[0,0,1] op_sel_hi:[1,1,0] neg_lo:[0,0,1] neg_hi:[0,0,1]
	v_mov_b32_e32 v4, s2
	v_mov_b32_e32 v13, v11
	v_pk_mul_f32 v[10:11], v[110:111], v[26:27]
	s_mov_b32 s2, 0x3ed4b147
	v_pk_fma_f32 v[24:25], v[28:29], v[26:27], v[10:11] op_sel:[0,0,1] op_sel_hi:[1,1,0]
	v_pk_fma_f32 v[10:11], v[28:29], v[26:27], v[10:11] op_sel:[0,0,1] op_sel_hi:[1,1,0] neg_lo:[0,0,1] neg_hi:[0,0,1]
	s_mov_b32 s8, 0xbf7d64f0
	v_mov_b32_e32 v25, v11
	s_waitcnt lgkmcnt(2)
	v_pk_mul_f32 v[10:11], v[100:101], v[40:41]
	s_mov_b32 s6, 0xbe11bafb
	v_pk_fma_f32 v[26:27], v[30:31], v[40:41], v[10:11] op_sel:[0,0,1] op_sel_hi:[1,1,0]
	v_pk_fma_f32 v[10:11], v[30:31], v[40:41], v[10:11] op_sel:[0,0,1] op_sel_hi:[1,1,0] neg_lo:[0,0,1] neg_hi:[0,0,1]
	s_mov_b32 s14, 0xbf4178ce
	v_mov_b32_e32 v27, v11
	v_pk_mul_f32 v[10:11], v[108:109], v[42:43]
	s_mov_b32 s12, 0xbf27a4f4
	v_pk_fma_f32 v[28:29], v[16:17], v[42:43], v[10:11] op_sel:[0,0,1] op_sel_hi:[1,1,0]
	v_pk_fma_f32 v[10:11], v[16:17], v[42:43], v[10:11] op_sel:[0,0,1] op_sel_hi:[1,1,0] neg_lo:[0,0,1] neg_hi:[0,0,1]
	s_mov_b32 s18, 0xbe903f40
	v_mov_b32_e32 v29, v11
	s_waitcnt lgkmcnt(1)
	v_pk_mul_f32 v[10:11], v[98:99], v[44:45]
	s_mov_b32 s16, 0xbf75a155
	v_pk_fma_f32 v[16:17], v[18:19], v[44:45], v[10:11] op_sel:[0,0,1] op_sel_hi:[1,1,0]
	v_pk_fma_f32 v[10:11], v[18:19], v[44:45], v[10:11] op_sel:[0,0,1] op_sel_hi:[1,1,0] neg_lo:[0,0,1] neg_hi:[0,0,1]
	s_mov_b32 s24, 0x3f0a6770
	v_mov_b32_e32 v17, v11
	v_pk_mul_f32 v[10:11], v[106:107], v[46:47]
	v_mov_b32_e32 v5, s3
	v_pk_fma_f32 v[18:19], v[32:33], v[46:47], v[10:11] op_sel:[0,0,1] op_sel_hi:[1,1,0]
	v_pk_fma_f32 v[10:11], v[32:33], v[46:47], v[10:11] op_sel:[0,0,1] op_sel_hi:[1,1,0] neg_lo:[0,0,1] neg_hi:[0,0,1]
	s_nop 0
	v_mov_b32_e32 v19, v11
	s_waitcnt lgkmcnt(0)
	v_pk_mul_f32 v[10:11], v[96:97], v[14:15]
	s_nop 0
	v_pk_fma_f32 v[30:31], v[34:35], v[14:15], v[10:11] op_sel:[0,0,1] op_sel_hi:[1,1,0]
	v_pk_fma_f32 v[10:11], v[34:35], v[14:15], v[10:11] op_sel:[0,0,1] op_sel_hi:[1,1,0] neg_lo:[0,0,1] neg_hi:[0,0,1]
	v_pk_add_f32 v[34:35], v[50:51], v[18:19]
	v_mov_b32_e32 v31, v11
	v_pk_mul_f32 v[10:11], v[20:21], v[2:3] op_sel:[1,0]
	s_nop 0
	v_pk_fma_f32 v[14:15], v[20:21], v[2:3], v[10:11] op_sel:[0,0,1] op_sel_hi:[1,1,0]
	v_pk_fma_f32 v[2:3], v[20:21], v[2:3], v[10:11] op_sel:[0,0,1] op_sel_hi:[0,1,0] neg_lo:[0,0,1] neg_hi:[0,0,1]
	v_mov_b32_e32 v15, v3
	v_pk_add_f32 v[2:3], v[0:1], v[14:15]
	v_pk_add_f32 v[10:11], v[14:15], v[30:31]
	;; [unrolled: 1-line block ×3, first 2 shown]
	v_pk_add_f32 v[14:15], v[14:15], v[30:31] neg_lo:[0,1] neg_hi:[0,1]
	v_pk_add_f32 v[2:3], v[2:3], v[22:23]
	v_pk_mul_f32 v[20:21], v[14:15], s[10:11] op_sel_hi:[1,0]
	v_pk_add_f32 v[2:3], v[2:3], v[12:13]
	s_nop 0
	v_pk_add_f32 v[2:3], v[2:3], v[24:25]
	s_nop 0
	;; [unrolled: 2-line block ×5, first 2 shown]
	v_pk_add_f32 v[2:3], v[2:3], v[18:19]
	v_pk_add_f32 v[18:19], v[50:51], v[18:19] neg_lo:[0,1] neg_hi:[0,1]
	v_pk_add_f32 v[2:3], v[2:3], v[30:31]
	v_pk_fma_f32 v[30:31], v[10:11], s[0:1], v[20:21] op_sel:[0,0,1] op_sel_hi:[1,0,0]
	v_pk_fma_f32 v[20:21], v[10:11], s[0:1], v[20:21] op_sel:[0,0,1] op_sel_hi:[1,0,0] neg_lo:[0,0,1] neg_hi:[0,0,1]
	v_pk_mul_f32 v[36:37], v[18:19], s[20:21] op_sel_hi:[1,0]
	v_mov_b32_e32 v32, v30
	v_mov_b32_e32 v33, v21
	v_pk_fma_f32 v[38:39], v[34:35], s[2:3], v[36:37] op_sel:[0,0,1] op_sel_hi:[1,0,0]
	v_pk_fma_f32 v[36:37], v[34:35], s[2:3], v[36:37] op_sel:[0,0,1] op_sel_hi:[1,0,0] neg_lo:[0,0,1] neg_hi:[0,0,1]
	v_pk_add_f32 v[32:33], v[0:1], v[32:33]
	v_mov_b32_e32 v40, v38
	v_mov_b32_e32 v41, v37
	v_pk_add_f32 v[32:33], v[40:41], v[32:33]
	v_pk_add_f32 v[40:41], v[22:23], v[16:17]
	v_pk_add_f32 v[16:17], v[22:23], v[16:17] neg_lo:[0,1] neg_hi:[0,1]
	v_pk_mul_f32 v[54:55], v[18:19], s[14:15] op_sel_hi:[1,0]
	v_pk_mul_f32 v[22:23], v[16:17], s[8:9] op_sel_hi:[1,0]
	v_pk_fma_f32 v[56:57], v[34:35], s[12:13], v[54:55] op_sel:[0,0,1] op_sel_hi:[1,0,0]
	v_pk_fma_f32 v[42:43], v[40:41], s[6:7], v[22:23] op_sel:[0,0,1] op_sel_hi:[1,0,0]
	v_pk_fma_f32 v[22:23], v[40:41], s[6:7], v[22:23] op_sel:[0,0,1] op_sel_hi:[1,0,0] neg_lo:[0,0,1] neg_hi:[0,0,1]
	v_mov_b32_e32 v44, v42
	v_mov_b32_e32 v45, v23
	v_pk_add_f32 v[32:33], v[44:45], v[32:33]
	v_pk_add_f32 v[44:45], v[12:13], v[28:29]
	v_pk_add_f32 v[12:13], v[12:13], v[28:29] neg_lo:[0,1] neg_hi:[0,1]
	v_pk_fma_f32 v[54:55], v[34:35], s[12:13], v[54:55] op_sel:[0,0,1] op_sel_hi:[1,0,0] neg_lo:[0,0,1] neg_hi:[0,0,1]
	v_pk_mul_f32 v[28:29], v[12:13], s[14:15] op_sel_hi:[1,0]
	v_mov_b32_e32 v58, v56
	v_pk_fma_f32 v[46:47], v[44:45], s[12:13], v[28:29] op_sel:[0,0,1] op_sel_hi:[1,0,0]
	v_pk_fma_f32 v[28:29], v[44:45], s[12:13], v[28:29] op_sel:[0,0,1] op_sel_hi:[1,0,0] neg_lo:[0,0,1] neg_hi:[0,0,1]
	v_mov_b32_e32 v48, v46
	v_mov_b32_e32 v49, v29
	v_pk_add_f32 v[32:33], v[48:49], v[32:33]
	v_pk_add_f32 v[48:49], v[24:25], v[26:27]
	v_pk_add_f32 v[24:25], v[24:25], v[26:27] neg_lo:[0,1] neg_hi:[0,1]
	v_mov_b32_e32 v59, v55
	v_pk_mul_f32 v[26:27], v[24:25], s[18:19] op_sel_hi:[1,0]
	v_pk_mul_f32 v[120:121], v[18:19], s[22:23] op_sel_hi:[1,0]
	v_pk_fma_f32 v[50:51], v[48:49], s[16:17], v[26:27] op_sel:[0,0,1] op_sel_hi:[1,0,0]
	v_pk_fma_f32 v[26:27], v[48:49], s[16:17], v[26:27] op_sel:[0,0,1] op_sel_hi:[1,0,0] neg_lo:[0,0,1] neg_hi:[0,0,1]
	v_mov_b32_e32 v52, v50
	v_mov_b32_e32 v53, v27
	v_pk_add_f32 v[32:33], v[52:53], v[32:33]
	ds_write2_b64 v69, v[2:3], v[32:33] offset1:66
	v_pk_mul_f32 v[2:3], v[14:15], s[20:21] op_sel_hi:[1,0]
	s_mov_b32 s20, 0x3e903f40
	v_pk_fma_f32 v[32:33], v[10:11], s[2:3], v[2:3] op_sel:[0,0,1] op_sel_hi:[1,0,0]
	v_pk_fma_f32 v[2:3], v[10:11], s[2:3], v[2:3] op_sel:[0,0,1] op_sel_hi:[1,0,0] neg_lo:[0,0,1] neg_hi:[0,0,1]
	v_mov_b32_e32 v52, v32
	v_mov_b32_e32 v53, v3
	v_pk_add_f32 v[52:53], v[0:1], v[52:53]
	v_pk_mul_f32 v[100:101], v[18:19], s[20:21] op_sel_hi:[1,0]
	v_pk_add_f32 v[52:53], v[58:59], v[52:53]
	v_pk_mul_f32 v[58:59], v[16:17], s[20:21] op_sel_hi:[1,0]
	v_pk_fma_f32 v[102:103], v[34:35], s[16:17], v[100:101] op_sel:[0,0,1] op_sel_hi:[1,0,0]
	v_pk_fma_f32 v[84:85], v[40:41], s[16:17], v[58:59] op_sel:[0,0,1] op_sel_hi:[1,0,0]
	v_pk_fma_f32 v[58:59], v[40:41], s[16:17], v[58:59] op_sel:[0,0,1] op_sel_hi:[1,0,0] neg_lo:[0,0,1] neg_hi:[0,0,1]
	v_mov_b32_e32 v86, v84
	v_mov_b32_e32 v87, v59
	v_pk_add_f32 v[52:53], v[86:87], v[52:53]
	v_pk_mul_f32 v[86:87], v[12:13], s[22:23] op_sel_hi:[1,0]
	v_pk_fma_f32 v[100:101], v[34:35], s[16:17], v[100:101] op_sel:[0,0,1] op_sel_hi:[1,0,0] neg_lo:[0,0,1] neg_hi:[0,0,1]
	v_pk_fma_f32 v[88:89], v[44:45], s[6:7], v[86:87] op_sel:[0,0,1] op_sel_hi:[1,0,0]
	v_pk_fma_f32 v[86:87], v[44:45], s[6:7], v[86:87] op_sel:[0,0,1] op_sel_hi:[1,0,0] neg_lo:[0,0,1] neg_hi:[0,0,1]
	v_mov_b32_e32 v90, v88
	v_mov_b32_e32 v91, v87
	v_pk_add_f32 v[52:53], v[90:91], v[52:53]
	v_pk_mul_f32 v[90:91], v[24:25], s[24:25] op_sel_hi:[1,0]
	v_mov_b32_e32 v104, v102
	v_pk_fma_f32 v[92:93], v[48:49], s[0:1], v[90:91] op_sel:[0,0,1] op_sel_hi:[1,0,0]
	v_pk_fma_f32 v[90:91], v[48:49], s[0:1], v[90:91] op_sel:[0,0,1] op_sel_hi:[1,0,0] neg_lo:[0,0,1] neg_hi:[0,0,1]
	v_mov_b32_e32 v94, v92
	v_mov_b32_e32 v95, v91
	v_pk_add_f32 v[52:53], v[94:95], v[52:53]
	v_pk_mul_f32 v[94:95], v[14:15], s[8:9] op_sel_hi:[1,0]
	v_mov_b32_e32 v105, v101
	v_pk_fma_f32 v[96:97], v[10:11], s[6:7], v[94:95] op_sel:[0,0,1] op_sel_hi:[1,0,0]
	v_pk_fma_f32 v[94:95], v[10:11], s[6:7], v[94:95] op_sel:[0,0,1] op_sel_hi:[1,0,0] neg_lo:[0,0,1] neg_hi:[0,0,1]
	v_mov_b32_e32 v98, v96
	v_mov_b32_e32 v99, v95
	v_pk_add_f32 v[98:99], v[0:1], v[98:99]
	s_mov_b32 s20, 0x3f68dda4
	v_pk_add_f32 v[98:99], v[104:105], v[98:99]
	v_pk_mul_f32 v[104:105], v[16:17], s[20:21] op_sel_hi:[1,0]
	v_pk_fma_f32 v[122:123], v[34:35], s[6:7], v[120:121] op_sel:[0,0,1] op_sel_hi:[1,0,0]
	v_pk_fma_f32 v[106:107], v[40:41], s[2:3], v[104:105] op_sel:[0,0,1] op_sel_hi:[1,0,0]
	v_pk_fma_f32 v[104:105], v[40:41], s[2:3], v[104:105] op_sel:[0,0,1] op_sel_hi:[1,0,0] neg_lo:[0,0,1] neg_hi:[0,0,1]
	v_mov_b32_e32 v108, v106
	v_mov_b32_e32 v109, v105
	v_pk_add_f32 v[98:99], v[108:109], v[98:99]
	v_pk_mul_f32 v[108:109], v[12:13], s[10:11] op_sel_hi:[1,0]
	v_pk_fma_f32 v[120:121], v[34:35], s[6:7], v[120:121] op_sel:[0,0,1] op_sel_hi:[1,0,0] neg_lo:[0,0,1] neg_hi:[0,0,1]
	v_pk_fma_f32 v[110:111], v[44:45], s[0:1], v[108:109] op_sel:[0,0,1] op_sel_hi:[1,0,0]
	v_pk_fma_f32 v[108:109], v[44:45], s[0:1], v[108:109] op_sel:[0,0,1] op_sel_hi:[1,0,0] neg_lo:[0,0,1] neg_hi:[0,0,1]
	v_mov_b32_e32 v112, v110
	v_mov_b32_e32 v113, v109
	v_pk_add_f32 v[98:99], v[112:113], v[98:99]
	v_pk_mul_f32 v[112:113], v[24:25], s[14:15] op_sel_hi:[1,0]
	v_mov_b32_e32 v124, v122
	v_pk_fma_f32 v[114:115], v[48:49], s[12:13], v[112:113] op_sel:[0,0,1] op_sel_hi:[1,0,0]
	v_pk_fma_f32 v[112:113], v[48:49], s[12:13], v[112:113] op_sel:[0,0,1] op_sel_hi:[1,0,0] neg_lo:[0,0,1] neg_hi:[0,0,1]
	v_mov_b32_e32 v118, v114
	v_mov_b32_e32 v119, v113
	v_pk_add_f32 v[98:99], v[118:119], v[98:99]
	ds_write2_b64 v69, v[52:53], v[98:99] offset0:132 offset1:198
	v_pk_mul_f32 v[52:53], v[14:15], s[14:15] op_sel_hi:[1,0]
	v_mov_b32_e32 v125, v121
	v_pk_fma_f32 v[98:99], v[10:11], s[12:13], v[52:53] op_sel:[0,0,1] op_sel_hi:[1,0,0]
	v_pk_fma_f32 v[52:53], v[10:11], s[12:13], v[52:53] op_sel:[0,0,1] op_sel_hi:[1,0,0] neg_lo:[0,0,1] neg_hi:[0,0,1]
	v_mov_b32_e32 v118, v98
	v_mov_b32_e32 v119, v53
	v_pk_add_f32 v[118:119], v[0:1], v[118:119]
	v_pk_mul_f32 v[14:15], v[14:15], s[18:19] op_sel_hi:[1,0]
	v_pk_add_f32 v[118:119], v[124:125], v[118:119]
	v_pk_mul_f32 v[124:125], v[16:17], s[10:11] op_sel_hi:[1,0]
	v_pk_mul_f32 v[18:19], v[18:19], s[24:25] op_sel_hi:[1,0]
	v_pk_fma_f32 v[126:127], v[40:41], s[0:1], v[124:125] op_sel:[0,0,1] op_sel_hi:[1,0,0]
	v_pk_fma_f32 v[124:125], v[40:41], s[0:1], v[124:125] op_sel:[0,0,1] op_sel_hi:[1,0,0] neg_lo:[0,0,1] neg_hi:[0,0,1]
	v_mov_b32_e32 v128, v126
	v_mov_b32_e32 v129, v125
	v_pk_add_f32 v[118:119], v[128:129], v[118:119]
	v_pk_mul_f32 v[128:129], v[12:13], s[18:19] op_sel_hi:[1,0]
	v_pk_fma_f32 v[138:139], v[34:35], s[0:1], v[18:19] op_sel:[0,0,1] op_sel_hi:[1,0,0]
	v_pk_fma_f32 v[130:131], v[44:45], s[16:17], v[128:129] op_sel:[0,0,1] op_sel_hi:[1,0,0]
	v_pk_fma_f32 v[128:129], v[44:45], s[16:17], v[128:129] op_sel:[0,0,1] op_sel_hi:[1,0,0] neg_lo:[0,0,1] neg_hi:[0,0,1]
	v_mov_b32_e32 v132, v130
	v_mov_b32_e32 v133, v129
	v_pk_add_f32 v[118:119], v[132:133], v[118:119]
	v_pk_mul_f32 v[132:133], v[24:25], s[20:21] op_sel_hi:[1,0]
	v_pk_fma_f32 v[18:19], v[34:35], s[0:1], v[18:19] op_sel:[0,0,1] op_sel_hi:[1,0,0] neg_lo:[0,0,1] neg_hi:[0,0,1]
	v_pk_fma_f32 v[134:135], v[48:49], s[2:3], v[132:133] op_sel:[0,0,1] op_sel_hi:[1,0,0]
	v_pk_fma_f32 v[132:133], v[48:49], s[2:3], v[132:133] op_sel:[0,0,1] op_sel_hi:[1,0,0] neg_lo:[0,0,1] neg_hi:[0,0,1]
	v_mov_b32_e32 v136, v134
	v_mov_b32_e32 v137, v133
	v_pk_add_f32 v[118:119], v[136:137], v[118:119]
	v_pk_fma_f32 v[136:137], v[10:11], s[16:17], v[14:15] op_sel:[0,0,1] op_sel_hi:[1,0,0]
	v_pk_fma_f32 v[10:11], v[10:11], s[16:17], v[14:15] op_sel:[0,0,1] op_sel_hi:[1,0,0] neg_lo:[0,0,1] neg_hi:[0,0,1]
	v_mov_b32_e32 v14, v136
	v_mov_b32_e32 v15, v11
	v_pk_add_f32 v[14:15], v[0:1], v[14:15]
	v_mov_b32_e32 v34, v138
	v_mov_b32_e32 v35, v19
	v_pk_mul_f32 v[16:17], v[16:17], s[14:15] op_sel_hi:[1,0]
	v_pk_add_f32 v[14:15], v[34:35], v[14:15]
	v_pk_fma_f32 v[34:35], v[40:41], s[12:13], v[16:17] op_sel:[0,0,1] op_sel_hi:[1,0,0]
	v_pk_fma_f32 v[16:17], v[40:41], s[12:13], v[16:17] op_sel:[0,0,1] op_sel_hi:[1,0,0] neg_lo:[0,0,1] neg_hi:[0,0,1]
	v_mov_b32_e32 v11, v137
	v_mov_b32_e32 v40, v34
	;; [unrolled: 1-line block ×3, first 2 shown]
	v_pk_mul_f32 v[12:13], v[12:13], s[20:21] op_sel_hi:[1,0]
	v_pk_add_f32 v[10:11], v[0:1], v[10:11]
	v_mov_b32_e32 v19, v139
	v_pk_add_f32 v[14:15], v[40:41], v[14:15]
	v_pk_fma_f32 v[40:41], v[44:45], s[2:3], v[12:13] op_sel:[0,0,1] op_sel_hi:[1,0,0]
	v_pk_fma_f32 v[12:13], v[44:45], s[2:3], v[12:13] op_sel:[0,0,1] op_sel_hi:[1,0,0] neg_lo:[0,0,1] neg_hi:[0,0,1]
	v_pk_add_f32 v[10:11], v[18:19], v[10:11]
	v_mov_b32_e32 v17, v35
	v_mov_b32_e32 v45, v13
	v_pk_add_f32 v[10:11], v[16:17], v[10:11]
	v_mov_b32_e32 v13, v41
	v_mov_b32_e32 v53, v99
	v_pk_add_f32 v[10:11], v[12:13], v[10:11]
	v_pk_add_f32 v[12:13], v[0:1], v[52:53]
	v_mov_b32_e32 v121, v123
	v_mov_b32_e32 v44, v40
	v_pk_mul_f32 v[24:25], v[24:25], s[8:9] op_sel_hi:[1,0]
	v_pk_add_f32 v[12:13], v[120:121], v[12:13]
	v_mov_b32_e32 v125, v127
	v_pk_add_f32 v[14:15], v[44:45], v[14:15]
	v_pk_fma_f32 v[44:45], v[48:49], s[6:7], v[24:25] op_sel:[0,0,1] op_sel_hi:[1,0,0]
	v_pk_fma_f32 v[24:25], v[48:49], s[6:7], v[24:25] op_sel:[0,0,1] op_sel_hi:[1,0,0] neg_lo:[0,0,1] neg_hi:[0,0,1]
	v_pk_add_f32 v[12:13], v[124:125], v[12:13]
	v_mov_b32_e32 v129, v131
	v_mov_b32_e32 v49, v25
	;; [unrolled: 1-line block ×3, first 2 shown]
	v_pk_add_f32 v[12:13], v[128:129], v[12:13]
	v_mov_b32_e32 v133, v135
	v_pk_add_f32 v[10:11], v[24:25], v[10:11]
	v_pk_add_f32 v[12:13], v[132:133], v[12:13]
	v_mov_b32_e32 v95, v97
	v_mov_b32_e32 v3, v33
	;; [unrolled: 1-line block ×3, first 2 shown]
	ds_write2_b64 v9, v[10:11], v[12:13] offset0:140 offset1:206
	v_pk_add_f32 v[10:11], v[0:1], v[94:95]
	v_mov_b32_e32 v101, v103
	v_pk_add_f32 v[2:3], v[0:1], v[2:3]
	v_mov_b32_e32 v55, v57
	;; [unrolled: 2-line block ×9, first 2 shown]
	v_mov_b32_e32 v48, v44
	v_pk_add_f32 v[10:11], v[108:109], v[10:11]
	v_mov_b32_e32 v113, v115
	v_pk_add_f32 v[2:3], v[86:87], v[2:3]
	;; [unrolled: 2-line block ×4, first 2 shown]
	v_pk_add_f32 v[10:11], v[112:113], v[10:11]
	v_pk_add_f32 v[2:3], v[90:91], v[2:3]
	v_pk_add_f32 v[0:1], v[26:27], v[0:1]
	ds_write2_b64 v9, v[118:119], v[14:15] offset0:8 offset1:74
	ds_write2_b64 v8, v[10:11], v[2:3] offset0:16 offset1:82
	ds_write_b64 v69, v[0:1] offset:5280
	s_waitcnt lgkmcnt(0)
	s_barrier
	ds_read2_b64 v[0:3], v69 offset1:66
	v_mov_b32_e32 v10, v7
	v_mad_u64_u32 v[10:11], s[0:1], s7, v68, v[10:11]
	v_mov_b32_e32 v7, v10
	s_waitcnt lgkmcnt(0)
	v_mul_f32_e32 v10, v83, v1
	v_fmac_f32_e32 v10, v82, v0
	v_mul_f32_e32 v0, v83, v0
	s_mov_b32 s0, 0x3a88d0c0
	v_fma_f32 v0, v82, v1, -v0
	v_cvt_f64_f32_e32 v[10:11], v10
	s_mov_b32 s1, 0x3f569147
	v_cvt_f64_f32_e32 v[0:1], v0
	v_mul_f64 v[10:11], v[10:11], s[0:1]
	v_mul_f64 v[0:1], v[0:1], s[0:1]
	v_cvt_f32_f64_e32 v10, v[10:11]
	v_cvt_f32_f64_e32 v11, v[0:1]
	v_mad_u64_u32 v[0:1], s[2:3], s4, v116, 0
	v_mov_b32_e32 v12, v1
	v_mad_u64_u32 v[12:13], s[2:3], s5, v116, v[12:13]
	v_mov_b32_e32 v1, v12
	v_lshl_add_u64 v[4:5], v[6:7], 3, v[4:5]
	v_lshl_add_u64 v[4:5], v[0:1], 3, v[4:5]
	v_mul_f32_e32 v0, v81, v3
	v_fmac_f32_e32 v0, v80, v2
	v_cvt_f64_f32_e32 v[0:1], v0
	v_mul_f64 v[0:1], v[0:1], s[0:1]
	v_cvt_f32_f64_e32 v6, v[0:1]
	v_mul_f32_e32 v0, v81, v2
	v_fma_f32 v0, v80, v3, -v0
	v_cvt_f64_f32_e32 v[0:1], v0
	v_mul_f64 v[0:1], v[0:1], s[0:1]
	v_cvt_f32_f64_e32 v7, v[0:1]
	ds_read2_b64 v[0:3], v69 offset0:132 offset1:198
	global_store_dwordx2 v[4:5], v[10:11], off
	v_mov_b32_e32 v10, 0x210
	v_mad_u64_u32 v[4:5], s[2:3], s4, v10, v[4:5]
	s_mulk_i32 s5, 0x210
	v_add_u32_e32 v5, s5, v5
	global_store_dwordx2 v[4:5], v[6:7], off
	s_waitcnt lgkmcnt(0)
	v_mul_f32_e32 v6, v75, v1
	v_fmac_f32_e32 v6, v74, v0
	v_mul_f32_e32 v0, v75, v0
	v_fma_f32 v0, v74, v1, -v0
	v_cvt_f64_f32_e32 v[6:7], v6
	v_cvt_f64_f32_e32 v[0:1], v0
	v_mul_f64 v[6:7], v[6:7], s[0:1]
	v_mul_f64 v[0:1], v[0:1], s[0:1]
	v_cvt_f32_f64_e32 v6, v[6:7]
	v_cvt_f32_f64_e32 v7, v[0:1]
	v_mul_f32_e32 v0, v73, v3
	v_fmac_f32_e32 v0, v72, v2
	v_mad_u64_u32 v[4:5], s[2:3], s4, v10, v[4:5]
	v_cvt_f64_f32_e32 v[0:1], v0
	v_add_u32_e32 v5, s5, v5
	v_mul_f64 v[0:1], v[0:1], s[0:1]
	global_store_dwordx2 v[4:5], v[6:7], off
	v_cvt_f32_f64_e32 v6, v[0:1]
	v_mul_f32_e32 v0, v73, v2
	v_fma_f32 v0, v72, v3, -v0
	v_cvt_f64_f32_e32 v[0:1], v0
	v_mul_f64 v[0:1], v[0:1], s[0:1]
	v_cvt_f32_f64_e32 v7, v[0:1]
	ds_read2_b64 v[0:3], v9 offset0:8 offset1:74
	v_mad_u64_u32 v[4:5], s[2:3], s4, v10, v[4:5]
	v_add_u32_e32 v5, s5, v5
	global_store_dwordx2 v[4:5], v[6:7], off
	s_waitcnt lgkmcnt(0)
	v_mul_f32_e32 v6, v79, v1
	v_fmac_f32_e32 v6, v78, v0
	v_mul_f32_e32 v0, v79, v0
	v_fma_f32 v0, v78, v1, -v0
	v_cvt_f64_f32_e32 v[6:7], v6
	v_cvt_f64_f32_e32 v[0:1], v0
	v_mul_f64 v[6:7], v[6:7], s[0:1]
	v_mul_f64 v[0:1], v[0:1], s[0:1]
	v_cvt_f32_f64_e32 v6, v[6:7]
	v_cvt_f32_f64_e32 v7, v[0:1]
	v_mul_f32_e32 v0, v77, v3
	v_fmac_f32_e32 v0, v76, v2
	v_mad_u64_u32 v[4:5], s[2:3], s4, v10, v[4:5]
	v_cvt_f64_f32_e32 v[0:1], v0
	v_add_u32_e32 v5, s5, v5
	v_mul_f64 v[0:1], v[0:1], s[0:1]
	global_store_dwordx2 v[4:5], v[6:7], off
	v_cvt_f32_f64_e32 v6, v[0:1]
	v_mul_f32_e32 v0, v77, v2
	v_fma_f32 v0, v76, v3, -v0
	v_cvt_f64_f32_e32 v[0:1], v0
	v_mul_f64 v[0:1], v[0:1], s[0:1]
	v_cvt_f32_f64_e32 v7, v[0:1]
	ds_read2_b64 v[0:3], v9 offset0:140 offset1:206
	v_mad_u64_u32 v[4:5], s[2:3], s4, v10, v[4:5]
	;; [unrolled: 28-line block ×3, first 2 shown]
	v_add_u32_e32 v5, s5, v5
	global_store_dwordx2 v[4:5], v[6:7], off
	s_waitcnt lgkmcnt(0)
	v_mul_f32_e32 v6, v65, v1
	v_fmac_f32_e32 v6, v64, v0
	v_mul_f32_e32 v0, v65, v0
	v_fma_f32 v0, v64, v1, -v0
	v_cvt_f64_f32_e32 v[6:7], v6
	v_cvt_f64_f32_e32 v[0:1], v0
	v_mul_f64 v[6:7], v[6:7], s[0:1]
	v_mul_f64 v[0:1], v[0:1], s[0:1]
	v_cvt_f32_f64_e32 v6, v[6:7]
	v_cvt_f32_f64_e32 v7, v[0:1]
	v_mad_u64_u32 v[0:1], s[2:3], s4, v10, v[4:5]
	v_mul_f32_e32 v4, v63, v3
	v_fmac_f32_e32 v4, v62, v2
	v_mul_f32_e32 v2, v63, v2
	v_fma_f32 v2, v62, v3, -v2
	v_cvt_f64_f32_e32 v[4:5], v4
	v_cvt_f64_f32_e32 v[2:3], v2
	v_mul_f64 v[4:5], v[4:5], s[0:1]
	v_mul_f64 v[2:3], v[2:3], s[0:1]
	v_cvt_f32_f64_e32 v4, v[4:5]
	v_cvt_f32_f64_e32 v5, v[2:3]
	ds_read_b64 v[2:3], v69 offset:5280
	v_add_u32_e32 v1, s5, v1
	global_store_dwordx2 v[0:1], v[6:7], off
	v_mad_u64_u32 v[0:1], s[2:3], s4, v10, v[0:1]
	v_add_u32_e32 v1, s5, v1
	global_store_dwordx2 v[0:1], v[4:5], off
	s_waitcnt lgkmcnt(0)
	v_mul_f32_e32 v4, v61, v3
	v_fmac_f32_e32 v4, v60, v2
	v_mul_f32_e32 v2, v61, v2
	v_fma_f32 v2, v60, v3, -v2
	v_cvt_f64_f32_e32 v[4:5], v4
	v_cvt_f64_f32_e32 v[2:3], v2
	v_mul_f64 v[4:5], v[4:5], s[0:1]
	v_mul_f64 v[2:3], v[2:3], s[0:1]
	v_mad_u64_u32 v[0:1], s[0:1], s4, v10, v[0:1]
	v_cvt_f32_f64_e32 v4, v[4:5]
	v_cvt_f32_f64_e32 v5, v[2:3]
	v_add_u32_e32 v1, s5, v1
	global_store_dwordx2 v[0:1], v[4:5], off
.LBB0_10:
	s_endpgm
	.section	.rodata,"a",@progbits
	.p2align	6, 0x0
	.amdhsa_kernel bluestein_single_fwd_len726_dim1_sp_op_CI_CI
		.amdhsa_group_segment_fixed_size 11616
		.amdhsa_private_segment_fixed_size 0
		.amdhsa_kernarg_size 104
		.amdhsa_user_sgpr_count 2
		.amdhsa_user_sgpr_dispatch_ptr 0
		.amdhsa_user_sgpr_queue_ptr 0
		.amdhsa_user_sgpr_kernarg_segment_ptr 1
		.amdhsa_user_sgpr_dispatch_id 0
		.amdhsa_user_sgpr_kernarg_preload_length 0
		.amdhsa_user_sgpr_kernarg_preload_offset 0
		.amdhsa_user_sgpr_private_segment_size 0
		.amdhsa_uses_dynamic_stack 0
		.amdhsa_enable_private_segment 0
		.amdhsa_system_sgpr_workgroup_id_x 1
		.amdhsa_system_sgpr_workgroup_id_y 0
		.amdhsa_system_sgpr_workgroup_id_z 0
		.amdhsa_system_sgpr_workgroup_info 0
		.amdhsa_system_vgpr_workitem_id 0
		.amdhsa_next_free_vgpr 218
		.amdhsa_next_free_sgpr 48
		.amdhsa_accum_offset 220
		.amdhsa_reserve_vcc 1
		.amdhsa_float_round_mode_32 0
		.amdhsa_float_round_mode_16_64 0
		.amdhsa_float_denorm_mode_32 3
		.amdhsa_float_denorm_mode_16_64 3
		.amdhsa_dx10_clamp 1
		.amdhsa_ieee_mode 1
		.amdhsa_fp16_overflow 0
		.amdhsa_tg_split 0
		.amdhsa_exception_fp_ieee_invalid_op 0
		.amdhsa_exception_fp_denorm_src 0
		.amdhsa_exception_fp_ieee_div_zero 0
		.amdhsa_exception_fp_ieee_overflow 0
		.amdhsa_exception_fp_ieee_underflow 0
		.amdhsa_exception_fp_ieee_inexact 0
		.amdhsa_exception_int_div_zero 0
	.end_amdhsa_kernel
	.text
.Lfunc_end0:
	.size	bluestein_single_fwd_len726_dim1_sp_op_CI_CI, .Lfunc_end0-bluestein_single_fwd_len726_dim1_sp_op_CI_CI
                                        ; -- End function
	.section	.AMDGPU.csdata,"",@progbits
; Kernel info:
; codeLenInByte = 12548
; NumSgprs: 54
; NumVgprs: 218
; NumAgprs: 0
; TotalNumVgprs: 218
; ScratchSize: 0
; MemoryBound: 0
; FloatMode: 240
; IeeeMode: 1
; LDSByteSize: 11616 bytes/workgroup (compile time only)
; SGPRBlocks: 6
; VGPRBlocks: 27
; NumSGPRsForWavesPerEU: 54
; NumVGPRsForWavesPerEU: 218
; AccumOffset: 220
; Occupancy: 2
; WaveLimiterHint : 1
; COMPUTE_PGM_RSRC2:SCRATCH_EN: 0
; COMPUTE_PGM_RSRC2:USER_SGPR: 2
; COMPUTE_PGM_RSRC2:TRAP_HANDLER: 0
; COMPUTE_PGM_RSRC2:TGID_X_EN: 1
; COMPUTE_PGM_RSRC2:TGID_Y_EN: 0
; COMPUTE_PGM_RSRC2:TGID_Z_EN: 0
; COMPUTE_PGM_RSRC2:TIDIG_COMP_CNT: 0
; COMPUTE_PGM_RSRC3_GFX90A:ACCUM_OFFSET: 54
; COMPUTE_PGM_RSRC3_GFX90A:TG_SPLIT: 0
	.text
	.p2alignl 6, 3212836864
	.fill 256, 4, 3212836864
	.type	__hip_cuid_21aa9c1498084e68,@object ; @__hip_cuid_21aa9c1498084e68
	.section	.bss,"aw",@nobits
	.globl	__hip_cuid_21aa9c1498084e68
__hip_cuid_21aa9c1498084e68:
	.byte	0                               ; 0x0
	.size	__hip_cuid_21aa9c1498084e68, 1

	.ident	"AMD clang version 19.0.0git (https://github.com/RadeonOpenCompute/llvm-project roc-6.4.0 25133 c7fe45cf4b819c5991fe208aaa96edf142730f1d)"
	.section	".note.GNU-stack","",@progbits
	.addrsig
	.addrsig_sym __hip_cuid_21aa9c1498084e68
	.amdgpu_metadata
---
amdhsa.kernels:
  - .agpr_count:     0
    .args:
      - .actual_access:  read_only
        .address_space:  global
        .offset:         0
        .size:           8
        .value_kind:     global_buffer
      - .actual_access:  read_only
        .address_space:  global
        .offset:         8
        .size:           8
        .value_kind:     global_buffer
      - .actual_access:  read_only
        .address_space:  global
        .offset:         16
        .size:           8
        .value_kind:     global_buffer
      - .actual_access:  read_only
        .address_space:  global
        .offset:         24
        .size:           8
        .value_kind:     global_buffer
      - .actual_access:  read_only
        .address_space:  global
        .offset:         32
        .size:           8
        .value_kind:     global_buffer
      - .offset:         40
        .size:           8
        .value_kind:     by_value
      - .address_space:  global
        .offset:         48
        .size:           8
        .value_kind:     global_buffer
      - .address_space:  global
        .offset:         56
        .size:           8
        .value_kind:     global_buffer
      - .address_space:  global
        .offset:         64
        .size:           8
        .value_kind:     global_buffer
      - .address_space:  global
        .offset:         72
        .size:           8
        .value_kind:     global_buffer
      - .offset:         80
        .size:           4
        .value_kind:     by_value
      - .address_space:  global
        .offset:         88
        .size:           8
        .value_kind:     global_buffer
      - .address_space:  global
        .offset:         96
        .size:           8
        .value_kind:     global_buffer
    .group_segment_fixed_size: 11616
    .kernarg_segment_align: 8
    .kernarg_segment_size: 104
    .language:       OpenCL C
    .language_version:
      - 2
      - 0
    .max_flat_workgroup_size: 132
    .name:           bluestein_single_fwd_len726_dim1_sp_op_CI_CI
    .private_segment_fixed_size: 0
    .sgpr_count:     54
    .sgpr_spill_count: 0
    .symbol:         bluestein_single_fwd_len726_dim1_sp_op_CI_CI.kd
    .uniform_work_group_size: 1
    .uses_dynamic_stack: false
    .vgpr_count:     218
    .vgpr_spill_count: 0
    .wavefront_size: 64
amdhsa.target:   amdgcn-amd-amdhsa--gfx950
amdhsa.version:
  - 1
  - 2
...

	.end_amdgpu_metadata
